;; amdgpu-corpus repo=ROCm/aiter kind=harvested arch=n/a opt=n/a

/root/src/amdgpu-assembly/repos/ROCm__aiter/hsa/gfx942/fmha_v3_bwd/bwd_hd128_bf16_causal_a32_rtne_psskddv.co:	file format elf64-amdgpu

Disassembly of section .text:

0000000000003e00 <_ZN5aiter43fmha_bwd_hd128_bf16_causal_a32_rtne_psskddvE>:
	s_and_b32 s1, s1, 0xffff                                   // 000000003E00: 8601FF01 0000FFFF
	s_load_dwordx2 s[32:33], s[0:1], 0x0                       // 000000003E08: C0060800 00000000
	s_load_dwordx2 s[36:37], s[0:1], 0x10                      // 000000003E10: C0060900 00000010
	s_load_dwordx2 s[40:41], s[0:1], 0x20                      // 000000003E18: C0060A00 00000020
	s_load_dwordx2 s[8:9], s[0:1], 0x30                        // 000000003E20: C0060200 00000030
	s_load_dwordx2 s[12:13], s[0:1], 0x40                      // 000000003E28: C0060300 00000040
	s_load_dwordx2 s[16:17], s[0:1], 0x50                      // 000000003E30: C0060400 00000050
	s_load_dwordx2 s[20:21], s[0:1], 0x60                      // 000000003E38: C0060500 00000060
	s_load_dwordx2 s[24:25], s[0:1], 0x70                      // 000000003E40: C0060600 00000070
	s_load_dwordx2 s[28:29], s[0:1], 0x80                      // 000000003E48: C0060700 00000080
	s_load_dword s47, s[0:1], 0x90                             // 000000003E50: C0020BC0 00000090
	s_load_dword s48, s[0:1], 0xa0                             // 000000003E58: C0020C00 000000A0
	s_load_dword s49, s[0:1], 0xb0                             // 000000003E60: C0020C40 000000B0
	s_load_dword s78, s[0:1], 0xd0                             // 000000003E68: C0021380 000000D0
	s_load_dword s79, s[0:1], 0xe0                             // 000000003E70: C00213C0 000000E0
	s_load_dword s5, s[0:1], 0xf0                              // 000000003E78: C0020140 000000F0
	s_load_dword s44, s[0:1], 0x100                            // 000000003E80: C0020B00 00000100
	s_load_dword s80, s[0:1], 0x110                            // 000000003E88: C0021400 00000110
	s_load_dword s81, s[0:1], 0x120                            // 000000003E90: C0021440 00000120
	s_load_dword s6, s[0:1], 0x130                             // 000000003E98: C0020180 00000130
	s_load_dword s52, s[0:1], 0x140                            // 000000003EA0: C0020D00 00000140
	s_load_dword s50, s[0:1], 0x150                            // 000000003EA8: C0020C80 00000150
	s_load_dword s98, s[0:1], 0x160                            // 000000003EB0: C0021880 00000160
	s_load_dword s72, s[0:1], 0x180                            // 000000003EB8: C0021200 00000180
	s_load_dword s90, s[0:1], 0x190                            // 000000003EC0: C0021680 00000190
	s_load_dword s91, s[0:1], 0x1a0                            // 000000003EC8: C00216C0 000001A0
	s_load_dword s7, s[0:1], 0x1b0                             // 000000003ED0: C00201C0 000001B0
	s_load_dword s92, s[0:1], 0x1c0                            // 000000003ED8: C0021700 000001C0
	s_load_dword s93, s[0:1], 0x1d0                            // 000000003EE0: C0021740 000001D0
	s_load_dword s51, s[0:1], 0x1e0                            // 000000003EE8: C0020CC0 000001E0
	s_load_dword s94, s[0:1], 0x1f0                            // 000000003EF0: C0021780 000001F0
	s_load_dword s95, s[0:1], 0x200                            // 000000003EF8: C00217C0 00000200
	s_load_dword s96, s[0:1], 0x210                            // 000000003F00: C0021800 00000210
	s_load_dword s97, s[0:1], 0x220                            // 000000003F08: C0021840 00000220
	s_load_dword s53, s[0:1], 0x230                            // 000000003F10: C0020D40 00000230
	v_lshrrev_b32_e32 v1, 10, v0                               // 000000003F18: 2002008A
	v_lshrrev_b32_e32 v2, 10, v1                               // 000000003F1C: 2004028A
	v_and_b32_e32 v2, 0x3ff, v2                                // 000000003F20: 260404FF 000003FF
	v_and_b32_e32 v1, 0x3ff, v1                                // 000000003F28: 260202FF 000003FF
	v_and_b32_e32 v0, 0x3ff, v0                                // 000000003F30: 260000FF 000003FF
	v_lshrrev_b32_e32 v3, 6, v0                                // 000000003F38: 20060086
	v_and_b32_e32 v0, 63, v0                                   // 000000003F3C: 260000BF
	s_mov_b32 s2, s2                                           // 000000003F40: BE820002
	s_mov_b32 s3, s3                                           // 000000003F44: BE830003
	s_mov_b32 s4, s4                                           // 000000003F48: BE840004
	v_readfirstlane_b32 s46, v3                                // 000000003F4C: 7E5C0503
	s_waitcnt lgkmcnt(0)                                       // 000000003F50: BF8CC07F
	s_mov_b32 s11, 0x20000                                     // 000000003F54: BE8B00FF 00020000
	s_mov_b32 s15, 0x20000                                     // 000000003F5C: BE8F00FF 00020000
	s_mov_b32 s19, 0x20000                                     // 000000003F64: BE9300FF 00020000
	s_mov_b32 s23, 0x20000                                     // 000000003F6C: BE9700FF 00020000
	s_mov_b32 s27, 0x20000                                     // 000000003F74: BE9B00FF 00020000
	s_mov_b32 s31, 0x20000                                     // 000000003F7C: BE9F00FF 00020000
	s_mov_b32 s35, 0x20000                                     // 000000003F84: BEA300FF 00020000
	s_mov_b32 s39, 0x20000                                     // 000000003F8C: BEA700FF 00020000
	s_mov_b32 s43, 0x20000                                     // 000000003F94: BEAB00FF 00020000
	s_and_b32 s9, s9, 0xffff                                   // 000000003F9C: 8609FF09 0000FFFF
	s_and_b32 s13, s13, 0xffff                                 // 000000003FA4: 860DFF0D 0000FFFF
	s_and_b32 s17, s17, 0xffff                                 // 000000003FAC: 8611FF11 0000FFFF
	s_and_b32 s21, s21, 0xffff                                 // 000000003FB4: 8615FF15 0000FFFF
	s_and_b32 s25, s25, 0xffff                                 // 000000003FBC: 8619FF19 0000FFFF
	s_and_b32 s29, s29, 0xffff                                 // 000000003FC4: 861DFF1D 0000FFFF
	s_and_b32 s33, s33, 0xffff                                 // 000000003FCC: 8621FF21 0000FFFF
	s_and_b32 s37, s37, 0xffff                                 // 000000003FD4: 8625FF25 0000FFFF
	s_and_b32 s41, s41, 0xffff                                 // 000000003FDC: 8629FF29 0000FFFF
	s_or_b32 s9, s9, 0x40000                                   // 000000003FE4: 8709FF09 00040000
	s_or_b32 s13, s13, 0x40000                                 // 000000003FEC: 870DFF0D 00040000
	s_or_b32 s17, s17, 0x40000                                 // 000000003FF4: 8711FF11 00040000
	s_or_b32 s21, s21, 0x40000                                 // 000000003FFC: 8715FF15 00040000
	s_or_b32 s25, s25, 0x40000                                 // 000000004004: 8719FF19 00040000
	s_or_b32 s29, s29, 0x40000                                 // 00000000400C: 871DFF1D 00040000
	s_or_b32 s33, s33, 0x40000                                 // 000000004014: 8721FF21 00040000
	s_or_b32 s37, s37, 0x40000                                 // 00000000401C: 8725FF25 00040000
	s_or_b32 s41, s41, 0x40000                                 // 000000004024: 8729FF29 00040000
	v_accvgpr_write_b32 a255, 0                                // 00000000402C: D3D940FF 18000080
	v_mov_b32_e32 v255, 0                                      // 000000004034: 7FFE0280
	s_mov_b32 s71, s3                                          // 000000004038: BEC70003
	v_cvt_f32_u32_e32 v28, s44                                 // 00000000403C: 7E380C2C
	s_sub_i32 s60, 0, s44                                      // 000000004040: 81BC2C80
	v_rcp_iflag_f32_e32 v28, v28                               // 000000004044: 7E38471C
	s_nop 0                                                    // 000000004048: BF800000
	v_mul_f32_e32 v28, 0x4f7ffffe, v28                         // 00000000404C: 0A3838FF 4F7FFFFE
	v_cvt_u32_f32_e32 v28, v28                                 // 000000004054: 7E380F1C
	v_mul_lo_u32 v29, s60, v28                                 // 000000004058: D285001D 0002383C
	v_mul_hi_u32 v29, v28, v29                                 // 000000004060: D286001D 00023B1C
	v_add_u32_e32 v28, v28, v29                                // 000000004068: 68383B1C
	v_mul_hi_u32 v28, s71, v28                                 // 00000000406C: D286001C 00023847
	v_mul_lo_u32 v29, v28, s44                                 // 000000004074: D285001D 0000591C
	v_sub_u32_e32 v31, s71, v29                                // 00000000407C: 6A3E3A47
	v_add_u32_e32 v30, 1, v28                                  // 000000004080: 683C3881
	v_cmp_le_u32_e32 vcc, s44, v31                             // 000000004084: 7D963E2C
	v_subrev_u32_e32 v29, s44, v31                             // 000000004088: 6C3A3E2C
	s_nop 0                                                    // 00000000408C: BF800000
	v_cndmask_b32_e32 v28, v28, v30, vcc                       // 000000004090: 00383D1C
	v_cndmask_b32_e32 v31, v31, v29, vcc                       // 000000004094: 003E3B1F
	v_add_u32_e32 v29, 1, v28                                  // 000000004098: 683A3881
	v_cmp_le_u32_e32 vcc, s44, v31                             // 00000000409C: 7D963E2C
	s_nop 1                                                    // 0000000040A0: BF800001
	v_cndmask_b32_e32 v31, v28, v29, vcc                       // 0000000040A4: 003E3B1C
	s_nop 3                                                    // 0000000040A8: BF800003
	v_readfirstlane_b32 s45, v31                               // 0000000040AC: 7E5A051F
	s_nop 3                                                    // 0000000040B0: BF800003
	s_mul_i32 s61, s45, s80                                    // 0000000040B4: 923D502D
	s_mov_b32 s54, s61                                         // 0000000040B8: BEB6003D
	s_add_u32 s12, s54, s12                                    // 0000000040BC: 800C0C36
	s_addc_u32 s13, 0, s13                                     // 0000000040C0: 820D0D80
	s_mul_i32 s60, s4, s81                                     // 0000000040C4: 923C5104
	s_mul_hi_u32 s61, s4, s81                                  // 0000000040C8: 963D5104
	s_and_b32 s61, s61, 0xffff                                 // 0000000040CC: 863DFF3D 0000FFFF
	s_add_u32 s12, s12, s60                                    // 0000000040D4: 800C3C0C
	s_addc_u32 s13, s13, s61                                   // 0000000040D8: 820D3D0D
	s_mul_i32 s61, s45, s90                                    // 0000000040DC: 923D5A2D
	s_mov_b32 s54, s61                                         // 0000000040E0: BEB6003D
	s_add_u32 s16, s54, s16                                    // 0000000040E4: 80101036
	s_addc_u32 s17, 0, s17                                     // 0000000040E8: 82111180
	s_mul_i32 s60, s4, s91                                     // 0000000040EC: 923C5B04
	s_mul_hi_u32 s61, s4, s91                                  // 0000000040F0: 963D5B04
	s_and_b32 s61, s61, 0xffff                                 // 0000000040F4: 863DFF3D 0000FFFF
	s_add_u32 s16, s16, s60                                    // 0000000040FC: 80103C10
	s_addc_u32 s17, s17, s61                                   // 000000004100: 82113D11
	s_mul_i32 s61, s3, s78                                     // 000000004104: 923D4E03
	s_mov_b32 s55, s61                                         // 000000004108: BEB7003D
	s_add_u32 s8, s55, s8                                      // 00000000410C: 80080837
	s_addc_u32 s9, 0, s9                                       // 000000004110: 82090980
	s_mul_i32 s60, s4, s79                                     // 000000004114: 923C4F04
	s_mul_hi_u32 s61, s4, s79                                  // 000000004118: 963D4F04
	s_and_b32 s61, s61, 0xffff                                 // 00000000411C: 863DFF3D 0000FFFF
	s_add_u32 s8, s8, s60                                      // 000000004124: 80083C08
	s_addc_u32 s9, s9, s61                                     // 000000004128: 82093D09
	s_mul_i32 s61, s3, s92                                     // 00000000412C: 923D5C03
	s_mov_b32 s56, s61                                         // 000000004130: BEB8003D
	s_add_u32 s20, s56, s20                                    // 000000004134: 80141438
	s_addc_u32 s21, 0, s21                                     // 000000004138: 82151580
	s_mul_i32 s60, s4, s93                                     // 00000000413C: 923C5D04
	s_mul_hi_u32 s61, s4, s93                                  // 000000004140: 963D5D04
	s_and_b32 s61, s61, 0xffff                                 // 000000004144: 863DFF3D 0000FFFF
	s_add_u32 s20, s20, s60                                    // 00000000414C: 80143C14
	s_addc_u32 s21, s21, s61                                   // 000000004150: 82153D15
	s_mul_i32 s62, s4, s72                                     // 000000004154: 923E4804
	s_mul_i32 s62, s62, s49                                    // 000000004158: 923E313E
	s_lshl_b32 s62, s62, 2                                     // 00000000415C: 8E3E823E
	s_mul_i32 s61, s3, s49                                     // 000000004160: 923D3103
	s_mul_i32 s61, 4, s61                                      // 000000004164: 923D3D84
	s_add_u32 s65, s61, s62                                    // 000000004168: 80413E3D
	s_mov_b32 s26, s49                                         // 00000000416C: BE9A0031
	s_mov_b32 s30, s49                                         // 000000004170: BE9E0031
	s_add_u32 s24, s65, s24                                    // 000000004174: 80181841
	s_addc_u32 s25, 0, s25                                     // 000000004178: 82191980
	s_add_u32 s28, s65, s28                                    // 00000000417C: 801C1C41
	s_addc_u32 s29, 0, s29                                     // 000000004180: 821D1D80
	s_mul_i32 s61, s3, s94                                     // 000000004184: 923D5E03
	s_mul_i32 s62, s4, s95                                     // 000000004188: 923E5F04
	s_add_u32 s60, s61, s62                                    // 00000000418C: 803C3E3D
	s_mul_hi_u32 s61, s4, s95                                  // 000000004190: 963D5F04
	s_and_b32 s61, s61, 0xffff                                 // 000000004194: 863DFF3D 0000FFFF
	s_add_u32 s36, s60, s36                                    // 00000000419C: 8024243C
	s_addc_u32 s37, s61, s37                                   // 0000000041A0: 8225253D
	s_mul_i32 s60, s50, s52                                    // 0000000041A4: 923C3432
	s_lshr_b32 s60, s60, 2                                     // 0000000041A8: 8F3C823C
	s_mov_b32 s38, s60                                         // 0000000041AC: BEA6003C
	s_mul_i32 s61, s3, s96                                     // 0000000041B0: 923D6003
	s_mul_i32 s62, s4, s97                                     // 0000000041B4: 923E6104
	s_add_u32 s60, s61, s62                                    // 0000000041B8: 803C3E3D
	s_mul_hi_u32 s61, s4, s97                                  // 0000000041BC: 963D6104
	s_and_b32 s61, s61, 0xffff                                 // 0000000041C0: 863DFF3D 0000FFFF
	s_add_u32 s40, s60, s40                                    // 0000000041C8: 8028283C
	s_addc_u32 s41, s61, s41                                   // 0000000041CC: 8229293D
	s_mul_i32 s60, s50, s53                                    // 0000000041D0: 923C3532
	s_lshr_b32 s60, s60, 2                                     // 0000000041D4: 8F3C823C
	s_mov_b32 s42, s60                                         // 0000000041D8: BEAA003C
	s_mul_i32 s60, s98, s65                                    // 0000000041DC: 923C4162
	s_mul_hi_u32 s62, s98, s65                                 // 0000000041E0: 963E4162
	s_and_b32 s62, s62, 0xffff                                 // 0000000041E4: 863EFF3E 0000FFFF
	s_add_u32 s32, s60, s32                                    // 0000000041EC: 8020203C
	s_addc_u32 s33, s62, s33                                   // 0000000041F0: 8221213E
	s_mul_i32 s60, s98, s49                                    // 0000000041F4: 923C3162
	s_lshl_b32 s60, s60, 2                                     // 0000000041F8: 8E3C823C
	s_mov_b32 s34, s60                                         // 0000000041FC: BEA2003C
	s_mov_b32 s82, s8                                          // 000000004200: BED20008
	s_mov_b32 s84, s12                                         // 000000004204: BED4000C
	s_mov_b32 s86, s16                                         // 000000004208: BED60010
	s_mov_b32 s88, s20                                         // 00000000420C: BED80014
	s_mov_b32 s83, s9                                          // 000000004210: BED30009
	s_mov_b32 s85, s13                                         // 000000004214: BED5000D
	s_mov_b32 s87, s17                                         // 000000004218: BED70011
	s_mov_b32 s89, s21                                         // 00000000421C: BED90015
	s_add_u32 s71, 0xbf, s50                                   // 000000004220: 804732FF 000000BF
	s_mov_b32 s74, 0xc0                                        // 000000004228: BECA00FF 000000C0
	v_cvt_f32_u32_e32 v28, s74                                 // 000000004230: 7E380C4A
	s_sub_i32 s60, 0, s74                                      // 000000004234: 81BC4A80
	v_rcp_iflag_f32_e32 v28, v28                               // 000000004238: 7E38471C
	s_nop 0                                                    // 00000000423C: BF800000
	v_mul_f32_e32 v28, 0x4f7ffffe, v28                         // 000000004240: 0A3838FF 4F7FFFFE
	v_cvt_u32_f32_e32 v28, v28                                 // 000000004248: 7E380F1C
	v_mul_lo_u32 v29, s60, v28                                 // 00000000424C: D285001D 0002383C
	v_mul_hi_u32 v29, v28, v29                                 // 000000004254: D286001D 00023B1C
	v_add_u32_e32 v28, v28, v29                                // 00000000425C: 68383B1C
	v_mul_hi_u32 v28, s71, v28                                 // 000000004260: D286001C 00023847
	v_mul_lo_u32 v29, v28, s74                                 // 000000004268: D285001D 0000951C
	v_sub_u32_e32 v31, s71, v29                                // 000000004270: 6A3E3A47
	v_add_u32_e32 v30, 1, v28                                  // 000000004274: 683C3881
	v_cmp_le_u32_e32 vcc, s74, v31                             // 000000004278: 7D963E4A
	v_subrev_u32_e32 v29, s74, v31                             // 00000000427C: 6C3A3E4A
	s_nop 0                                                    // 000000004280: BF800000
	v_cndmask_b32_e32 v28, v28, v30, vcc                       // 000000004284: 00383D1C
	v_cndmask_b32_e32 v31, v31, v29, vcc                       // 000000004288: 003E3B1F
	v_add_u32_e32 v29, 1, v28                                  // 00000000428C: 683A3881
	v_cmp_le_u32_e32 vcc, s74, v31                             // 000000004290: 7D963E4A
	s_nop 1                                                    // 000000004294: BF800001
	v_cndmask_b32_e32 v31, v28, v29, vcc                       // 000000004298: 003E3B1C
	s_nop 3                                                    // 00000000429C: BF800003
	v_readfirstlane_b32 s77, v31                               // 0000000042A0: 7E9A051F
	s_nop 3                                                    // 0000000042A4: BF800003
	v_mov_b32_e32 v28, s47                                     // 0000000042A8: 7E38022F
	v_mul_f32_e32 v28, s48, v28                                // 0000000042AC: 0A383830
	s_mov_b32 s58, s49                                         // 0000000042B0: BEBA0031
	s_mov_b32 s59, 0                                           // 0000000042B4: BEBB0080
	s_mov_b32 s63, 0x5040100                                   // 0000000042B8: BEBF00FF 05040100
	s_mov_b32 s64, 0x7060302                                   // 0000000042C0: BEC000FF 07060302
	v_readfirstlane_b32 s57, v28                               // 0000000042C8: 7E72051C
	v_mov_b32_e32 v30, 0x3020706                               // 0000000042CC: 7E3C02FF 03020706
	v_mov_b32_e32 v28, s63                                     // 0000000042D4: 7E38023F
	v_and_b32_e32 v29, 1, v0                                   // 0000000042D8: 263A0081
	v_cmp_eq_u32_e32 vcc, 1, v29                               // 0000000042DC: 7D943A81
	s_mul_i32 s60, s98, 64                                     // 0000000042E0: 923CC062
	s_mov_b32 s67, s60                                         // 0000000042E4: BEC3003C
	v_cndmask_b32_e32 v15, v28, v30, vcc                       // 0000000042E8: 001E3D1C
	v_mov_b32_e32 v249, 0xffff0000                             // 0000000042EC: 7FF202FF FFFF0000
	v_mov_b32_e32 v250, 0x7fff0000                             // 0000000042F4: 7FF402FF 7FFF0000
	v_mov_b32_e32 v251, 0x7fff                                 // 0000000042FC: 7FF602FF 00007FFF
	s_cmp_lt_u32 s46, 2                                        // 000000004304: BF0A822E
	s_cselect_b32 s24, s24, s28                                // 000000004308: 85181C18
	s_cselect_b32 s25, s25, s29                                // 00000000430C: 85191D19
	s_cselect_b32 s26, s26, s30                                // 000000004310: 851A1E1A
	s_cselect_b32 s27, s27, s31                                // 000000004314: 851B1F1B
	s_lshr_b32 s60, s46, 1                                     // 000000004318: 8F3C812E
	s_lshl_b32 s60, s60, 8                                     // 00000000431C: 8E3C883C
	s_add_u32 s80, 0xc600, s60                                 // 000000004320: 80503CFF 0000C600
	s_add_u32 s81, 0x200, s80                                  // 000000004328: 805150FF 00000200
	s_mov_b32 s75, 0                                           // 000000004330: BECB0080
	s_mov_b32 s76, 1                                           // 000000004334: BECC0081
	s_lshl_b32 s60, s2, 1                                      // 000000004338: 8E3C8102
	s_add_u32 s60, 1, s60                                      // 00000000433C: 803C3C81
	s_cmp_ge_i32 s60, s77                                      // 000000004340: BF034D3C
	s_cselect_b32 s76, s76, 2                                  // 000000004344: 854C824C
	v_lshrrev_b32_e32 v28, 2, v0                               // 000000004348: 20380082
	v_and_b32_e32 v29, 3, v28                                  // 00000000434C: 263A3883
	v_lshrrev_b32_e32 v30, 3, v28                              // 000000004350: 203C3883
	v_lshlrev_b32_e32 v30, 2, v30                              // 000000004354: 243C3C82
	v_add_u32_e32 v28, v30, v29                                // 000000004358: 68383B1E
	s_lshr_b32 s60, s46, 1                                     // 00000000435C: 8F3C812E
	s_sub_i32 s60, 1, s60                                      // 000000004360: 81BC3C81
	v_mul_i32_i24_e64 v29, s60, 8                              // 000000004364: D106001D 0001103C
	v_mov_b32_e32 v30, s98                                     // 00000000436C: 7E3C0262
	v_sub_u32_e64 v30, v30, 64                                 // 000000004370: D135001E 0001811E
	v_lshrrev_b32_e32 v30, 3, v30                              // 000000004378: 203C3C83
	v_add_u32_e32 v29, v30, v29                                // 00000000437C: 683A3B1E
	v_cmp_lt_u32_e64 s[90:91], v28, v29                        // 000000004380: D0C9005A 00023B1C

0000000000004388 <label_0162>:
	s_mov_b32 m0, s80                                          // 000000004388: BEFC0050
	s_mov_b32 s66, 0                                           // 00000000438C: BEC20080
	v_mov_b32_e32 v151, 0xff800000                             // 000000004390: 7F2E02FF FF800000
	s_mov_b32 s74, 0                                           // 000000004398: BECA0080
	s_mul_i32 s68, 4, s5                                       // 00000000439C: 92440584
	s_mul_i32 s99, 4, s51                                      // 0000000043A0: 92633384
	s_mov_b32 s69, 16                                          // 0000000043A4: BEC50090
	s_mul_i32 s59, 0xc0, s2                                    // 0000000043A8: 923B02FF 000000C0
	s_mul_i32 s54, s6, s59                                     // 0000000043B0: 92363B06
	s_sub_i32 s61, s50, s59                                    // 0000000043B4: 81BD3B32
	s_mul_i32 s62, s6, s61                                     // 0000000043B8: 923E3D06
	s_lshr_b32 s62, s62, 2                                     // 0000000043BC: 8F3E823E
	s_mov_b32 s14, s62                                         // 0000000043C0: BE8E003E
	s_add_u32 s12, s54, s84                                    // 0000000043C4: 800C5436
	s_addc_u32 s13, 0, s85                                     // 0000000043C8: 820D5580
	s_mul_i32 s54, s7, s59                                     // 0000000043CC: 92363B07
	s_mul_i32 s62, s7, s61                                     // 0000000043D0: 923E3D07
	s_lshr_b32 s62, s62, 2                                     // 0000000043D4: 8F3E823E
	s_mov_b32 s18, s62                                         // 0000000043D8: BE92003E
	s_add_u32 s16, s54, s86                                    // 0000000043DC: 80105636
	s_addc_u32 s17, 0, s87                                     // 0000000043E0: 82115780
	s_mov_b32 s71, s6                                          // 0000000043E4: BEC70006
	v_lshrrev_b32_e32 v28, 4, v0                               // 0000000043E8: 20380084
	v_and_b32_e32 v29, 1, v28                                  // 0000000043EC: 263A3881
	v_lshlrev_b32_e32 v29, 1, v29                              // 0000000043F0: 243A3A81
	v_mul_i32_i24_e32 v29, s71, v29                            // 0000000043F4: 0C3A3A47
	v_and_b32_e32 v30, 2, v28                                  // 0000000043F8: 263C3882
	v_lshlrev_b32_e32 v30, 5, v30                              // 0000000043FC: 243C3C85
	v_add_u32_e32 v29, v30, v29                                // 000000004400: 683A3B1E
	v_and_b32_e32 v28, 15, v0                                  // 000000004404: 2638008F
	v_lshlrev_b32_e32 v28, 2, v28                              // 000000004408: 24383882
	v_add_u32_e32 v1, v28, v29                                 // 00000000440C: 68023B1C
	s_and_b32 s60, 1, s46                                      // 000000004410: 863C2E81
	s_mul_i32 s60, s60, s71                                    // 000000004414: 923C473C
	s_mul_i32 s60, s60, 8                                      // 000000004418: 923C883C
	s_lshr_b32 s61, s46, 1                                     // 00000000441C: 8F3D812E
	s_mul_i32 s61, s61, 0x80                                   // 000000004420: 923DFF3D 00000080
	s_add_u32 s60, s60, s61                                    // 000000004428: 803C3D3C
	v_add_u32_e32 v1, s60, v1                                  // 00000000442C: 6802023C
	v_add_u32_e32 v2, s71, v1                                  // 000000004430: 68040247
	s_mul_i32 s60, 4, s71                                      // 000000004434: 923C4784
	v_add_u32_e32 v3, s60, v1                                  // 000000004438: 6806023C
	v_add_u32_e32 v4, s60, v2                                  // 00000000443C: 6808043C
	s_mov_b32 s71, s7                                          // 000000004440: BEC70007
	v_lshrrev_b32_e32 v28, 4, v0                               // 000000004444: 20380084
	v_and_b32_e32 v29, 1, v28                                  // 000000004448: 263A3881
	v_lshlrev_b32_e32 v29, 1, v29                              // 00000000444C: 243A3A81
	v_mul_i32_i24_e32 v29, s71, v29                            // 000000004450: 0C3A3A47
	v_and_b32_e32 v30, 2, v28                                  // 000000004454: 263C3882
	v_lshlrev_b32_e32 v30, 5, v30                              // 000000004458: 243C3C85
	v_add_u32_e32 v29, v30, v29                                // 00000000445C: 683A3B1E
	v_and_b32_e32 v28, 15, v0                                  // 000000004460: 2638008F
	v_lshlrev_b32_e32 v28, 2, v28                              // 000000004464: 24383882
	v_add_u32_e32 v252, v28, v29                               // 000000004468: 69F83B1C
	s_and_b32 s60, 1, s46                                      // 00000000446C: 863C2E81
	s_mul_i32 s60, s60, s71                                    // 000000004470: 923C473C
	s_mul_i32 s60, s60, 8                                      // 000000004474: 923C883C
	s_lshr_b32 s61, s46, 1                                     // 000000004478: 8F3D812E
	s_mul_i32 s61, s61, 0x80                                   // 00000000447C: 923DFF3D 00000080
	s_add_u32 s60, s60, s61                                    // 000000004484: 803C3D3C
	v_add_u32_e32 v252, s60, v252                              // 000000004488: 69F9F83C
	v_add_u32_e32 v253, s71, v252                              // 00000000448C: 69FBF847
	s_mul_i32 s60, 4, s71                                      // 000000004490: 923C4784
	v_add_u32_e32 v254, s60, v252                              // 000000004494: 69FDF83C
	v_add_u32_e32 v255, s60, v253                              // 000000004498: 69FFFA3C
	v_lshrrev_b32_e32 v1, 2, v1                                // 00000000449C: 20020282
	v_lshrrev_b32_e32 v2, 2, v2                                // 0000000044A0: 20040482
	v_lshrrev_b32_e32 v3, 2, v3                                // 0000000044A4: 20060682
	v_lshrrev_b32_e32 v4, 2, v4                                // 0000000044A8: 20080882
	v_lshrrev_b32_e32 v252, 2, v252                            // 0000000044AC: 21F9F882
	v_lshrrev_b32_e32 v253, 2, v253                            // 0000000044B0: 21FBFA82
	v_lshrrev_b32_e32 v254, 2, v254                            // 0000000044B4: 21FDFC82
	v_lshrrev_b32_e32 v255, 2, v255                            // 0000000044B8: 21FFFE82
	s_mov_b32 s70, s52                                         // 0000000044BC: BEC60034
	v_lshrrev_b32_e32 v28, 4, v0                               // 0000000044C0: 20380084
	v_mul_i32_i24_e32 v5, s70, v28                             // 0000000044C4: 0C0A3846
	v_lshrrev_b32_e32 v5, 2, v5                                // 0000000044C8: 200A0A82
	v_and_b32_e32 v28, 15, v0                                  // 0000000044CC: 2638008F
	v_lshlrev_b32_e32 v29, 2, v28                              // 0000000044D0: 243A3882
	v_add_u32_e32 v5, v29, v5                                  // 0000000044D4: 680A0B1D
	s_mul_i32 s60, 16, s70                                     // 0000000044D8: 923C4690
	s_mul_i32 s60, s46, s60                                    // 0000000044DC: 923C3C2E
	v_lshlrev_b32_e32 v5, 2, v5                                // 0000000044E0: 240A0A82
	v_add_u32_e32 v5, s60, v5                                  // 0000000044E4: 680A0A3C
	s_mul_i32 s60, s52, s59                                    // 0000000044E8: 923C3B34
	v_add_u32_e32 v5, s60, v5                                  // 0000000044EC: 680A0A3C
	v_lshrrev_b32_e32 v5, 2, v5                                // 0000000044F0: 200A0A82
	s_mov_b32 s70, s53                                         // 0000000044F4: BEC60035
	v_lshrrev_b32_e32 v28, 4, v0                               // 0000000044F8: 20380084
	v_mul_i32_i24_e32 v6, s70, v28                             // 0000000044FC: 0C0C3846
	v_lshrrev_b32_e32 v6, 2, v6                                // 000000004500: 200C0C82
	v_and_b32_e32 v28, 15, v0                                  // 000000004504: 2638008F
	v_lshlrev_b32_e32 v29, 2, v28                              // 000000004508: 243A3882
	v_add_u32_e32 v6, v29, v6                                  // 00000000450C: 680C0D1D
	s_mul_i32 s60, 16, s70                                     // 000000004510: 923C4690
	s_mul_i32 s60, s46, s60                                    // 000000004514: 923C3C2E
	v_lshlrev_b32_e32 v6, 2, v6                                // 000000004518: 240C0C82
	v_add_u32_e32 v6, s60, v6                                  // 00000000451C: 680C0C3C
	s_mul_i32 s60, s53, s59                                    // 000000004520: 923C3B35
	v_add_u32_e32 v6, s60, v6                                  // 000000004524: 680C0C3C
	v_lshrrev_b32_e32 v6, 2, v6                                // 000000004528: 200C0C82
	s_cmp_ge_i32 s59, s49                                      // 00000000452C: BF03313B
	s_cselect_b32 s59, s49, s59                                // 000000004530: 853B3B31
	s_add_u32 s73, 16, s59                                     // 000000004534: 80493B90
	s_mul_i32 s55, s5, s59                                     // 000000004538: 92373B05
	s_sub_i32 s61, s49, s59                                    // 00000000453C: 81BD3B31
	s_mul_i32 s62, s5, s61                                     // 000000004540: 923E3D05
	s_lshr_b32 s62, s62, 2                                     // 000000004544: 8F3E823E
	s_mov_b32 s10, s62                                         // 000000004548: BE8A003E
	s_add_u32 s8, s55, s82                                     // 00000000454C: 80085237
	s_addc_u32 s9, 0, s83                                      // 000000004550: 82095380
	s_mul_i32 s56, s51, s59                                    // 000000004554: 92383B33
	s_mul_i32 s62, s51, s61                                    // 000000004558: 923E3D33
	s_lshr_b32 s62, s62, 2                                     // 00000000455C: 8F3E823E
	s_mov_b32 s22, s62                                         // 000000004560: BE96003E
	s_add_u32 s20, s56, s88                                    // 000000004564: 80145838
	s_addc_u32 s21, 0, s89                                     // 000000004568: 82155980
	s_mul_i32 s65, s59, 4                                      // 00000000456C: 9241843B
	v_and_b32_e32 v9, 15, v0                                   // 000000004570: 2612008F
	v_lshlrev_b32_e32 v9, 2, v9                                // 000000004574: 24121282
	v_add_u32_e32 v9, s65, v9                                  // 000000004578: 68121241
	v_lshrrev_b32_e32 v9, 2, v9                                // 00000000457C: 20121282
	v_lshrrev_b32_e32 v28, 5, v0                               // 000000004580: 20380085
	v_mul_i32_i24_e64 v29, s98, 2                              // 000000004584: D106001D 00010462
	v_mul_i32_i24_e32 v7, v29, v28                             // 00000000458C: 0C0E391D
	v_and_b32_e32 v28, 31, v0                                  // 000000004590: 2638009F
	v_add_u32_e32 v7, v28, v7                                  // 000000004594: 680E0F1C
	s_mul_i32 s60, 4, s98                                      // 000000004598: 923C6284
	s_mul_i32 s60, s46, s60                                    // 00000000459C: 923C3C2E
	v_add_u32_e32 v7, s60, v7                                  // 0000000045A0: 680E0E3C
	v_lshlrev_b32_e32 v7, 2, v7                                // 0000000045A4: 240E0E82
	v_mul_i32_i24_e32 v29, 2, v29                              // 0000000045A8: 0C3A3A82
	v_add_u32_e32 v8, v29, v7                                  // 0000000045AC: 68100F1D
	s_mul_i32 s60, s98, s65                                    // 0000000045B0: 923C4162
	v_add_u32_e32 v7, s60, v7                                  // 0000000045B4: 680E0E3C
	v_add_u32_e32 v8, s60, v8                                  // 0000000045B8: 6810103C
	s_mul_i32 s60, 3, s2                                       // 0000000045BC: 923C0283
	s_add_u32 s61, s50, 63                                     // 0000000045C0: 803DBF32
	s_lshr_b32 s61, s61, 6                                     // 0000000045C4: 8F3D863D
	s_sub_i32 s72, s61, s60                                    // 0000000045C8: 81C83C3D
	s_cmp_lt_i32 s72, 3                                        // 0000000045CC: BF048348
	s_cselect_b32 s72, s72, 3                                  // 0000000045D0: 85488348
	s_mul_i32 s60, 0xc0, s2                                    // 0000000045D4: 923C02FF 000000C0
	s_sub_i32 s100, s50, s60                                   // 0000000045DC: 81E43C32
	v_and_b32_e32 v28, 31, v0                                  // 0000000045E0: 2638009F
	v_lshrrev_b32_e32 v28, 1, v28                              // 0000000045E4: 20383881
	v_and_b32_e32 v29, 1, v28                                  // 0000000045E8: 263A3881
	v_lshlrev_b32_e32 v29, 4, v29                              // 0000000045EC: 243A3A84
	v_and_b32_e32 v30, 2, v28                                  // 0000000045F0: 263C3882
	v_lshlrev_b32_e32 v30, 2, v30                              // 0000000045F4: 243C3C82
	v_add_u32_e32 v29, v30, v29                                // 0000000045F8: 683A3B1E
	v_and_b32_e32 v30, 12, v28                                 // 0000000045FC: 263C388C
	v_lshrrev_b32_e32 v30, 1, v30                              // 000000004600: 203C3C81
	v_add_u32_e32 v29, v30, v29                                // 000000004604: 683A3B1E
	v_lshrrev_b32_e32 v28, 5, v0                               // 000000004608: 20380085
	v_mul_i32_i24_e32 v30, 0x80, v28                           // 00000000460C: 0C3C38FF 00000080
	v_add_u32_e32 v29, v30, v29                                // 000000004614: 683A3B1E
	v_and_b32_e32 v30, 1, v0                                   // 000000004618: 263C0081
	v_add_u32_e32 v11, v30, v29                                // 00000000461C: 68163B1E
	s_and_b32 s60, 1, s46                                      // 000000004620: 863C2E81
	s_mul_i32 s60, s60, 64                                     // 000000004624: 923CC03C
	s_lshr_b32 s61, s46, 1                                     // 000000004628: 8F3D812E
	s_mul_i32 s61, s61, 0x220                                  // 00000000462C: 923DFF3D 00000220
	s_add_u32 s60, s60, s61                                    // 000000004634: 803C3D3C
	v_add_u32_e32 v11, s60, v11                                // 000000004638: 6816163C
	v_lshlrev_b32_e32 v11, 2, v11                              // 00000000463C: 24161682
	v_lshrrev_b32_e32 v28, 4, v0                               // 000000004640: 20380084
	v_and_b32_e32 v29, 1, v28                                  // 000000004644: 263A3881
	v_lshlrev_b32_e32 v29, 4, v29                              // 000000004648: 243A3A84
	v_and_b32_e32 v30, 2, v28                                  // 00000000464C: 263C3882
	v_mul_i32_i24_e32 v30, 4, v30                              // 000000004650: 0C3C3C84
	v_add_u32_e32 v29, v30, v29                                // 000000004654: 683A3B1E
	v_and_b32_e32 v28, 15, v0                                  // 000000004658: 2638008F
	v_lshrrev_b32_e32 v30, 2, v28                              // 00000000465C: 203C3882
	v_lshlrev_b32_e32 v30, 5, v30                              // 000000004660: 243C3C85
	v_add_u32_e32 v29, v30, v29                                // 000000004664: 683A3B1E
	v_and_b32_e32 v28, 3, v0                                   // 000000004668: 26380083
	v_and_b32_e32 v30, 1, v28                                  // 00000000466C: 263C3881
	v_mul_i32_i24_e32 v30, 0x108, v30                          // 000000004670: 0C3C3CFF 00000108
	v_add_u32_e32 v29, v30, v29                                // 000000004678: 683A3B1E
	v_and_b32_e32 v30, 2, v28                                  // 00000000467C: 263C3882
	v_lshlrev_b32_e32 v30, 1, v30                              // 000000004680: 243C3C81
	v_add_u32_e32 v10, v30, v29                                // 000000004684: 68143B1E
	v_lshlrev_b32_e32 v10, 2, v10                              // 000000004688: 24141482
	s_mul_i32 s60, s46, 0x1100                                 // 00000000468C: 923CFF2E 00001100
	v_add_u32_e32 v22, s60, v10                                // 000000004694: 682C143C
	v_lshrrev_b32_e32 v28, 5, v0                               // 000000004698: 20380085
	v_mul_i32_i24_e32 v13, 0x80, v28                           // 00000000469C: 0C1A38FF 00000080
	v_and_b32_e32 v28, 31, v0                                  // 0000000046A4: 2638009F
	v_and_b32_e32 v29, 7, v28                                  // 0000000046A8: 263A3887
	v_and_b32_e32 v30, 1, v29                                  // 0000000046AC: 263C3A81
	v_lshlrev_b32_e32 v30, 2, v30                              // 0000000046B0: 243C3C82
	v_add_u32_e32 v13, v30, v13                                // 0000000046B4: 681A1B1E
	v_and_b32_e32 v30, 2, v29                                  // 0000000046B8: 263C3A82
	v_lshlrev_b32_e32 v30, 3, v30                              // 0000000046BC: 243C3C83
	v_add_u32_e32 v13, v30, v13                                // 0000000046C0: 681A1B1E
	v_and_b32_e32 v30, 4, v29                                  // 0000000046C4: 263C3A84
	v_lshlrev_b32_e32 v30, 1, v30                              // 0000000046C8: 243C3C81
	v_add_u32_e32 v13, v30, v13                                // 0000000046CC: 681A1B1E
	v_lshrrev_b32_e32 v29, 3, v28                              // 0000000046D0: 203A3883
	v_and_b32_e32 v30, 1, v29                                  // 0000000046D4: 263C3A81
	v_lshlrev_b32_e32 v30, 1, v30                              // 0000000046D8: 243C3C81
	v_add_u32_e32 v13, v30, v13                                // 0000000046DC: 681A1B1E
	v_and_b32_e32 v30, 2, v29                                  // 0000000046E0: 263C3A82
	v_lshrrev_b32_e32 v30, 1, v30                              // 0000000046E4: 203C3C81
	v_add_u32_e32 v13, v30, v13                                // 0000000046E8: 681A1B1E
	s_and_b32 s60, 1, s46                                      // 0000000046EC: 863C2E81
	s_mul_i32 s60, s60, 64                                     // 0000000046F0: 923CC03C
	s_lshr_b32 s61, s46, 1                                     // 0000000046F4: 8F3D812E
	s_mul_i32 s61, s61, 0x220                                  // 0000000046F8: 923DFF3D 00000220
	s_add_u32 s60, s60, s61                                    // 000000004700: 803C3D3C
	v_add_u32_e32 v13, s60, v13                                // 000000004704: 681A1A3C
	v_lshlrev_b32_e32 v13, 2, v13                              // 000000004708: 241A1A82
	v_and_b32_e32 v28, 15, v0                                  // 00000000470C: 2638008F
	v_and_b32_e32 v30, 1, v28                                  // 000000004710: 263C3881
	v_mul_i32_i24_e32 v12, 0x108, v30                          // 000000004714: 0C183CFF 00000108
	v_and_b32_e32 v30, 2, v28                                  // 00000000471C: 263C3882
	v_lshlrev_b32_e32 v30, 1, v30                              // 000000004720: 243C3C81
	v_add_u32_e32 v12, v30, v12                                // 000000004724: 6818191E
	v_and_b32_e32 v30, 4, v28                                  // 000000004728: 263C3884
	v_lshlrev_b32_e32 v30, 2, v30                              // 00000000472C: 243C3C82
	v_add_u32_e32 v12, v30, v12                                // 000000004730: 6818191E
	v_and_b32_e32 v30, 8, v28                                  // 000000004734: 263C3888
	v_add_u32_e32 v12, v30, v12                                // 000000004738: 6818191E
	v_lshrrev_b32_e32 v28, 4, v0                               // 00000000473C: 20380084
	v_and_b32_e32 v30, 1, v28                                  // 000000004740: 263C3881
	v_lshlrev_b32_e32 v30, 5, v30                              // 000000004744: 243C3C85
	v_add_u32_e32 v12, v30, v12                                // 000000004748: 6818191E
	v_and_b32_e32 v29, 2, v28                                  // 00000000474C: 263A3882
	v_mul_i32_i24_e32 v30, 32, v29                             // 000000004750: 0C3C3AA0
	v_mul_i32_i24_e32 v29, 0x220, v29                          // 000000004754: 0C3A3AFF 00000220
	v_add_u32_e32 v23, v29, v12                                // 00000000475C: 682E191D
	v_add_u32_e32 v12, v30, v12                                // 000000004760: 6818191E
	v_lshlrev_b32_e32 v12, 2, v12                              // 000000004764: 24181882
	v_lshlrev_b32_e32 v23, 2, v23                              // 000000004768: 242E2E82
	s_and_b32 s60, 1, s46                                      // 00000000476C: 863C2E81
	s_mul_i32 s60, s60, 0x200                                  // 000000004770: 923CFF3C 00000200
	s_lshr_b32 s61, s46, 1                                     // 000000004778: 8F3D812E
	s_mul_i32 s61, s61, 0x880                                  // 00000000477C: 923DFF3D 00000880
	s_add_u32 s60, s60, s61                                    // 000000004784: 803C3D3C
	v_add_u32_e32 v23, s60, v23                                // 000000004788: 682E2E3C
	v_lshrrev_b32_e32 v28, 4, v0                               // 00000000478C: 20380084
	v_mul_i32_i24_e32 v21, 4, v28                              // 000000004790: 0C2A3884
	v_and_b32_e32 v29, 3, v0                                   // 000000004794: 263A0083
	v_add_u32_e32 v21, v29, v21                                // 000000004798: 682A2B1D
	v_lshlrev_b32_e32 v21, 2, v21                              // 00000000479C: 242A2A82
	v_lshrrev_b32_e32 v28, 4, v0                               // 0000000047A0: 20380084
	v_and_b32_e32 v29, 1, v28                                  // 0000000047A4: 263A3881
	v_mul_i32_i24_e32 v19, 0x100, v29                          // 0000000047A8: 0C263AFF 00000100
	v_and_b32_e32 v29, 2, v28                                  // 0000000047B0: 263A3882
	v_mul_i32_i24_e32 v29, 64, v29                             // 0000000047B4: 0C3A3AC0
	v_add_u32_e32 v19, v29, v19                                // 0000000047B8: 6826271D
	v_and_b32_e32 v28, 15, v0                                  // 0000000047BC: 2638008F
	v_mul_i32_i24_e32 v29, 2, v28                              // 0000000047C0: 0C3A3882
	v_add_u32_e32 v19, v29, v19                                // 0000000047C4: 6826271D
	s_mul_i32 s60, s46, 32                                     // 0000000047C8: 923CA02E
	v_add_u32_e32 v19, s60, v19                                // 0000000047CC: 6826263C
	v_lshlrev_b32_e32 v19, 2, v19                              // 0000000047D0: 24262682
	v_lshlrev_b32_e32 v20, 1, v0                               // 0000000047D4: 24280081
	s_mul_i32 s60, s46, 0x200                                  // 0000000047D8: 923CFF2E 00000200
	v_add_u32_e32 v20, s60, v20                                // 0000000047E0: 6828283C
	v_lshlrev_b32_e32 v20, 2, v20                              // 0000000047E4: 24282882
	v_lshrrev_b32_e32 v28, 5, v0                               // 0000000047E8: 20380085
	v_mul_i32_i24_e32 v17, 64, v28                             // 0000000047EC: 0C2238C0
	v_and_b32_e32 v28, 31, v0                                  // 0000000047F0: 2638009F
	v_and_b32_e32 v28, 3, v28                                  // 0000000047F4: 26383883
	v_and_b32_e32 v29, 1, v28                                  // 0000000047F8: 263A3881
	v_mul_i32_i24_e32 v29, 4, v29                              // 0000000047FC: 0C3A3A84
	v_add_u32_e32 v17, v29, v17                                // 000000004800: 6822231D
	v_and_b32_e32 v29, 2, v28                                  // 000000004804: 263A3882
	v_mul_i32_i24_e32 v29, 0x44, v29                           // 000000004808: 0C3A3AFF 00000044
	v_add_u32_e32 v17, v29, v17                                // 000000004810: 6822231D
	v_and_b32_e32 v28, 31, v0                                  // 000000004814: 2638009F
	v_lshrrev_b32_e32 v28, 2, v28                              // 000000004818: 20383882
	v_lshrrev_b32_e32 v30, 2, v28                              // 00000000481C: 203C3882
	v_mul_i32_i24_e32 v29, 16, v30                             // 000000004820: 0C3A3C90
	v_add_u32_e32 v17, v29, v17                                // 000000004824: 6822231D
	v_and_b32_e32 v29, 2, v28                                  // 000000004828: 263A3882
	v_lshlrev_b32_e32 v29, 4, v29                              // 00000000482C: 243A3A84
	v_add_u32_e32 v17, v29, v17                                // 000000004830: 6822231D
	v_and_b32_e32 v29, 1, v28                                  // 000000004834: 263A3881
	v_xor_b32_e32 v29, v30, v29                                // 000000004838: 2A3A3B1E
	v_mul_i32_i24_e32 v29, 8, v29                              // 00000000483C: 0C3A3A88
	v_add_u32_e32 v17, v29, v17                                // 000000004840: 6822231D
	v_lshlrev_b32_e32 v17, 2, v17                              // 000000004844: 24222282
	v_lshrrev_b32_e32 v28, 5, v0                               // 000000004848: 20380085
	v_mul_i32_i24_e32 v18, 32, v28                             // 00000000484C: 0C2438A0
	v_and_b32_e32 v28, 31, v0                                  // 000000004850: 2638009F
	v_and_b32_e32 v28, 3, v28                                  // 000000004854: 26383883
	v_and_b32_e32 v29, 1, v28                                  // 000000004858: 263A3881
	v_mul_i32_i24_e32 v29, 4, v29                              // 00000000485C: 0C3A3A84
	v_add_u32_e32 v18, v29, v18                                // 000000004860: 6824251D
	v_and_b32_e32 v29, 2, v28                                  // 000000004864: 263A3882
	v_lshrrev_b32_e32 v29, 1, v29                              // 000000004868: 203A3A81
	v_add_u32_e32 v18, v29, v18                                // 00000000486C: 6824251D
	v_and_b32_e32 v28, 31, v0                                  // 000000004870: 2638009F
	v_lshrrev_b32_e32 v28, 2, v28                              // 000000004874: 20383882
	v_and_b32_e32 v30, 1, v28                                  // 000000004878: 263C3881
	v_mul_i32_i24_e32 v29, 16, v30                             // 00000000487C: 0C3A3C90
	v_add_u32_e32 v18, v29, v18                                // 000000004880: 6824251D
	v_and_b32_e32 v29, 2, v28                                  // 000000004884: 263A3882
	v_add_u32_e32 v18, v29, v18                                // 000000004888: 6824251D
	v_lshrrev_b32_e32 v29, 2, v28                              // 00000000488C: 203A3882
	v_xor_b32_e32 v29, v30, v29                                // 000000004890: 2A3A3B1E
	v_mul_i32_i24_e32 v29, 8, v29                              // 000000004894: 0C3A3A88
	v_add_u32_e32 v18, v29, v18                                // 000000004898: 6824251D
	s_and_b32 s60, 1, s46                                      // 00000000489C: 863C2E81
	s_mul_i32 s60, s60, 64                                     // 0000000048A0: 923CC03C
	s_lshr_b32 s61, s46, 1                                     // 0000000048A4: 8F3D812E
	s_mul_i32 s61, s61, 0x120                                  // 0000000048A8: 923DFF3D 00000120
	s_add_u32 s60, s60, s61                                    // 0000000048B0: 803C3D3C
	v_add_u32_e32 v18, s60, v18                                // 0000000048B4: 6824243C
	v_lshlrev_b32_e32 v18, 2, v18                              // 0000000048B8: 24242482
	v_mov_b32_e32 v152, 0                                      // 0000000048BC: 7F300280
	s_mov_b64 exec, s[90:91]                                   // 0000000048C0: BEFE015A
	buffer_load_dword v152, v1, s[12:15], 0 idxen              // 0000000048C4: E0502000 80039801
	s_mov_b32 exec_lo, -1                                      // 0000000048CC: BEFE00C1
	s_mov_b32 exec_hi, -1                                      // 0000000048D0: BEFF00C1
	v_mov_b32_e32 v153, 0                                      // 0000000048D4: 7F320280
	s_mov_b64 exec, s[90:91]                                   // 0000000048D8: BEFE015A
	buffer_load_dword v153, v2, s[12:15], 0 idxen              // 0000000048DC: E0502000 80039902
	s_mov_b32 exec_lo, -1                                      // 0000000048E4: BEFE00C1
	s_mov_b32 exec_hi, -1                                      // 0000000048E8: BEFF00C1
	v_mov_b32_e32 v154, 0                                      // 0000000048EC: 7F340280
	s_mov_b64 exec, s[90:91]                                   // 0000000048F0: BEFE015A
	buffer_load_dword v154, v3, s[12:15], 0 idxen              // 0000000048F4: E0502000 80039A03
	s_mov_b32 exec_lo, -1                                      // 0000000048FC: BEFE00C1
	s_mov_b32 exec_hi, -1                                      // 000000004900: BEFF00C1
	v_mov_b32_e32 v155, 0                                      // 000000004904: 7F360280
	s_mov_b64 exec, s[90:91]                                   // 000000004908: BEFE015A
	buffer_load_dword v155, v4, s[12:15], 0 idxen              // 00000000490C: E0502000 80039B04
	s_mov_b32 exec_lo, -1                                      // 000000004914: BEFE00C1
	s_mov_b32 exec_hi, -1                                      // 000000004918: BEFF00C1
	s_mul_i32 s60, 4, s6                                       // 00000000491C: 923C0684
	s_cmp_lt_i32 0, s72                                        // 000000004920: BF044880
	s_cselect_b32 s60, s60, 0                                  // 000000004924: 853C803C
	v_add_u32_e32 v1, s60, v1                                  // 000000004928: 6802023C
	v_add_u32_e32 v2, s60, v2                                  // 00000000492C: 6804043C
	v_add_u32_e32 v3, s60, v3                                  // 000000004930: 6806063C
	v_add_u32_e32 v4, s60, v4                                  // 000000004934: 6808083C
	v_mov_b32_e32 v156, 0                                      // 000000004938: 7F380280
	s_mov_b64 exec, s[90:91]                                   // 00000000493C: BEFE015A
	buffer_load_dword v156, v1, s[12:15], 0 idxen              // 000000004940: E0502000 80039C01
	s_mov_b32 exec_lo, -1                                      // 000000004948: BEFE00C1
	s_mov_b32 exec_hi, -1                                      // 00000000494C: BEFF00C1
	v_mov_b32_e32 v157, 0                                      // 000000004950: 7F3A0280
	s_mov_b64 exec, s[90:91]                                   // 000000004954: BEFE015A
	buffer_load_dword v157, v2, s[12:15], 0 idxen              // 000000004958: E0502000 80039D02
	s_mov_b32 exec_lo, -1                                      // 000000004960: BEFE00C1
	s_mov_b32 exec_hi, -1                                      // 000000004964: BEFF00C1
	v_mov_b32_e32 v158, 0                                      // 000000004968: 7F3C0280
	s_mov_b64 exec, s[90:91]                                   // 00000000496C: BEFE015A
	buffer_load_dword v158, v3, s[12:15], 0 idxen              // 000000004970: E0502000 80039E03
	s_mov_b32 exec_lo, -1                                      // 000000004978: BEFE00C1
	s_mov_b32 exec_hi, -1                                      // 00000000497C: BEFF00C1
	v_mov_b32_e32 v159, 0                                      // 000000004980: 7F3E0280
	s_mov_b64 exec, s[90:91]                                   // 000000004984: BEFE015A
	buffer_load_dword v159, v4, s[12:15], 0 idxen              // 000000004988: E0502000 80039F04
	s_mov_b32 exec_lo, -1                                      // 000000004990: BEFE00C1
	s_mov_b32 exec_hi, -1                                      // 000000004994: BEFF00C1
	s_mul_i32 s60, 4, s6                                       // 000000004998: 923C0684
	s_cmp_lt_i32 0, s72                                        // 00000000499C: BF044880
	s_cselect_b32 s60, s60, 0                                  // 0000000049A0: 853C803C
	v_add_u32_e32 v1, s60, v1                                  // 0000000049A4: 6802023C
	v_add_u32_e32 v2, s60, v2                                  // 0000000049A8: 6804043C
	v_add_u32_e32 v3, s60, v3                                  // 0000000049AC: 6806063C
	v_add_u32_e32 v4, s60, v4                                  // 0000000049B0: 6808083C
	v_mov_b32_e32 v160, 0                                      // 0000000049B4: 7F400280
	s_mov_b64 exec, s[90:91]                                   // 0000000049B8: BEFE015A
	buffer_load_dword v160, v1, s[12:15], 0 idxen              // 0000000049BC: E0502000 8003A001
	s_mov_b32 exec_lo, -1                                      // 0000000049C4: BEFE00C1
	s_mov_b32 exec_hi, -1                                      // 0000000049C8: BEFF00C1
	v_mov_b32_e32 v161, 0                                      // 0000000049CC: 7F420280
	s_mov_b64 exec, s[90:91]                                   // 0000000049D0: BEFE015A
	buffer_load_dword v161, v2, s[12:15], 0 idxen              // 0000000049D4: E0502000 8003A102
	s_mov_b32 exec_lo, -1                                      // 0000000049DC: BEFE00C1
	s_mov_b32 exec_hi, -1                                      // 0000000049E0: BEFF00C1
	v_mov_b32_e32 v162, 0                                      // 0000000049E4: 7F440280
	s_mov_b64 exec, s[90:91]                                   // 0000000049E8: BEFE015A
	buffer_load_dword v162, v3, s[12:15], 0 idxen              // 0000000049EC: E0502000 8003A203
	s_mov_b32 exec_lo, -1                                      // 0000000049F4: BEFE00C1
	s_mov_b32 exec_hi, -1                                      // 0000000049F8: BEFF00C1
	v_mov_b32_e32 v163, 0                                      // 0000000049FC: 7F460280
	s_mov_b64 exec, s[90:91]                                   // 000000004A00: BEFE015A
	buffer_load_dword v163, v4, s[12:15], 0 idxen              // 000000004A04: E0502000 8003A304
	s_mov_b32 exec_lo, -1                                      // 000000004A0C: BEFE00C1
	s_mov_b32 exec_hi, -1                                      // 000000004A10: BEFF00C1
	s_mul_i32 s60, 4, s6                                       // 000000004A14: 923C0684
	s_cmp_lt_i32 0, s72                                        // 000000004A18: BF044880
	s_cselect_b32 s60, s60, 0                                  // 000000004A1C: 853C803C
	v_add_u32_e32 v1, s60, v1                                  // 000000004A20: 6802023C
	v_add_u32_e32 v2, s60, v2                                  // 000000004A24: 6804043C
	v_add_u32_e32 v3, s60, v3                                  // 000000004A28: 6806063C
	v_add_u32_e32 v4, s60, v4                                  // 000000004A2C: 6808083C
	v_mov_b32_e32 v164, 0                                      // 000000004A30: 7F480280
	s_mov_b64 exec, s[90:91]                                   // 000000004A34: BEFE015A
	buffer_load_dword v164, v1, s[12:15], 0 idxen              // 000000004A38: E0502000 8003A401
	s_mov_b32 exec_lo, -1                                      // 000000004A40: BEFE00C1
	s_mov_b32 exec_hi, -1                                      // 000000004A44: BEFF00C1
	v_mov_b32_e32 v165, 0                                      // 000000004A48: 7F4A0280
	s_mov_b64 exec, s[90:91]                                   // 000000004A4C: BEFE015A
	buffer_load_dword v165, v2, s[12:15], 0 idxen              // 000000004A50: E0502000 8003A502
	s_mov_b32 exec_lo, -1                                      // 000000004A58: BEFE00C1
	s_mov_b32 exec_hi, -1                                      // 000000004A5C: BEFF00C1
	v_mov_b32_e32 v166, 0                                      // 000000004A60: 7F4C0280
	s_mov_b64 exec, s[90:91]                                   // 000000004A64: BEFE015A
	buffer_load_dword v166, v3, s[12:15], 0 idxen              // 000000004A68: E0502000 8003A603
	s_mov_b32 exec_lo, -1                                      // 000000004A70: BEFE00C1
	s_mov_b32 exec_hi, -1                                      // 000000004A74: BEFF00C1
	v_mov_b32_e32 v167, 0                                      // 000000004A78: 7F4E0280
	s_mov_b64 exec, s[90:91]                                   // 000000004A7C: BEFE015A
	buffer_load_dword v167, v4, s[12:15], 0 idxen              // 000000004A80: E0502000 8003A704
	s_mov_b32 exec_lo, -1                                      // 000000004A88: BEFE00C1
	s_mov_b32 exec_hi, -1                                      // 000000004A8C: BEFF00C1
	s_mul_i32 s60, 4, s6                                       // 000000004A90: 923C0684
	s_cmp_lt_i32 1, s72                                        // 000000004A94: BF044881
	s_cselect_b32 s60, s60, 0                                  // 000000004A98: 853C803C
	v_add_u32_e32 v1, s60, v1                                  // 000000004A9C: 6802023C
	v_add_u32_e32 v2, s60, v2                                  // 000000004AA0: 6804043C
	v_add_u32_e32 v3, s60, v3                                  // 000000004AA4: 6806063C
	v_add_u32_e32 v4, s60, v4                                  // 000000004AA8: 6808083C
	v_mov_b32_e32 v168, 0                                      // 000000004AAC: 7F500280
	s_mov_b64 exec, s[90:91]                                   // 000000004AB0: BEFE015A
	buffer_load_dword v168, v1, s[12:15], 0 idxen              // 000000004AB4: E0502000 8003A801
	s_mov_b32 exec_lo, -1                                      // 000000004ABC: BEFE00C1
	s_mov_b32 exec_hi, -1                                      // 000000004AC0: BEFF00C1
	v_mov_b32_e32 v169, 0                                      // 000000004AC4: 7F520280
	s_mov_b64 exec, s[90:91]                                   // 000000004AC8: BEFE015A
	buffer_load_dword v169, v2, s[12:15], 0 idxen              // 000000004ACC: E0502000 8003A902
	s_mov_b32 exec_lo, -1                                      // 000000004AD4: BEFE00C1
	s_mov_b32 exec_hi, -1                                      // 000000004AD8: BEFF00C1
	v_mov_b32_e32 v170, 0                                      // 000000004ADC: 7F540280
	s_mov_b64 exec, s[90:91]                                   // 000000004AE0: BEFE015A
	buffer_load_dword v170, v3, s[12:15], 0 idxen              // 000000004AE4: E0502000 8003AA03
	s_mov_b32 exec_lo, -1                                      // 000000004AEC: BEFE00C1
	s_mov_b32 exec_hi, -1                                      // 000000004AF0: BEFF00C1
	v_mov_b32_e32 v171, 0                                      // 000000004AF4: 7F560280
	s_mov_b64 exec, s[90:91]                                   // 000000004AF8: BEFE015A
	buffer_load_dword v171, v4, s[12:15], 0 idxen              // 000000004AFC: E0502000 8003AB04
	s_mov_b32 exec_lo, -1                                      // 000000004B04: BEFE00C1
	s_mov_b32 exec_hi, -1                                      // 000000004B08: BEFF00C1
	s_mul_i32 s60, 4, s6                                       // 000000004B0C: 923C0684
	s_cmp_lt_i32 1, s72                                        // 000000004B10: BF044881
	s_cselect_b32 s60, s60, 0                                  // 000000004B14: 853C803C
	v_add_u32_e32 v1, s60, v1                                  // 000000004B18: 6802023C
	v_add_u32_e32 v2, s60, v2                                  // 000000004B1C: 6804043C
	v_add_u32_e32 v3, s60, v3                                  // 000000004B20: 6806063C
	v_add_u32_e32 v4, s60, v4                                  // 000000004B24: 6808083C
	v_mov_b32_e32 v172, 0                                      // 000000004B28: 7F580280
	s_mov_b64 exec, s[90:91]                                   // 000000004B2C: BEFE015A
	buffer_load_dword v172, v1, s[12:15], 0 idxen              // 000000004B30: E0502000 8003AC01
	s_mov_b32 exec_lo, -1                                      // 000000004B38: BEFE00C1
	s_mov_b32 exec_hi, -1                                      // 000000004B3C: BEFF00C1
	v_mov_b32_e32 v173, 0                                      // 000000004B40: 7F5A0280
	s_mov_b64 exec, s[90:91]                                   // 000000004B44: BEFE015A
	buffer_load_dword v173, v2, s[12:15], 0 idxen              // 000000004B48: E0502000 8003AD02
	s_mov_b32 exec_lo, -1                                      // 000000004B50: BEFE00C1
	s_mov_b32 exec_hi, -1                                      // 000000004B54: BEFF00C1
	v_mov_b32_e32 v174, 0                                      // 000000004B58: 7F5C0280
	s_mov_b64 exec, s[90:91]                                   // 000000004B5C: BEFE015A
	buffer_load_dword v174, v3, s[12:15], 0 idxen              // 000000004B60: E0502000 8003AE03
	s_mov_b32 exec_lo, -1                                      // 000000004B68: BEFE00C1
	s_mov_b32 exec_hi, -1                                      // 000000004B6C: BEFF00C1
	v_mov_b32_e32 v175, 0                                      // 000000004B70: 7F5E0280
	s_mov_b64 exec, s[90:91]                                   // 000000004B74: BEFE015A
	buffer_load_dword v175, v4, s[12:15], 0 idxen              // 000000004B78: E0502000 8003AF04
	s_mov_b32 exec_lo, -1                                      // 000000004B80: BEFE00C1
	s_mov_b32 exec_hi, -1                                      // 000000004B84: BEFF00C1
	s_mul_i32 s60, 4, s6                                       // 000000004B88: 923C0684
	s_cmp_lt_i32 1, s72                                        // 000000004B8C: BF044881
	s_cselect_b32 s60, s60, 0                                  // 000000004B90: 853C803C
	v_add_u32_e32 v1, s60, v1                                  // 000000004B94: 6802023C
	v_add_u32_e32 v2, s60, v2                                  // 000000004B98: 6804043C
	v_add_u32_e32 v3, s60, v3                                  // 000000004B9C: 6806063C
	v_add_u32_e32 v4, s60, v4                                  // 000000004BA0: 6808083C
	v_mov_b32_e32 v176, 0                                      // 000000004BA4: 7F600280
	s_mov_b64 exec, s[90:91]                                   // 000000004BA8: BEFE015A
	buffer_load_dword v176, v1, s[12:15], 0 idxen              // 000000004BAC: E0502000 8003B001
	s_mov_b32 exec_lo, -1                                      // 000000004BB4: BEFE00C1
	s_mov_b32 exec_hi, -1                                      // 000000004BB8: BEFF00C1
	v_mov_b32_e32 v177, 0                                      // 000000004BBC: 7F620280
	s_mov_b64 exec, s[90:91]                                   // 000000004BC0: BEFE015A
	buffer_load_dword v177, v2, s[12:15], 0 idxen              // 000000004BC4: E0502000 8003B102
	s_mov_b32 exec_lo, -1                                      // 000000004BCC: BEFE00C1
	s_mov_b32 exec_hi, -1                                      // 000000004BD0: BEFF00C1
	v_mov_b32_e32 v178, 0                                      // 000000004BD4: 7F640280
	s_mov_b64 exec, s[90:91]                                   // 000000004BD8: BEFE015A
	buffer_load_dword v178, v3, s[12:15], 0 idxen              // 000000004BDC: E0502000 8003B203
	s_mov_b32 exec_lo, -1                                      // 000000004BE4: BEFE00C1
	s_mov_b32 exec_hi, -1                                      // 000000004BE8: BEFF00C1
	v_mov_b32_e32 v179, 0                                      // 000000004BEC: 7F660280
	s_mov_b64 exec, s[90:91]                                   // 000000004BF0: BEFE015A
	buffer_load_dword v179, v4, s[12:15], 0 idxen              // 000000004BF4: E0502000 8003B304
	s_mov_b32 exec_lo, -1                                      // 000000004BFC: BEFE00C1
	s_mov_b32 exec_hi, -1                                      // 000000004C00: BEFF00C1
	s_mul_i32 s60, 4, s6                                       // 000000004C04: 923C0684
	s_cmp_lt_i32 1, s72                                        // 000000004C08: BF044881
	s_cselect_b32 s60, s60, 0                                  // 000000004C0C: 853C803C
	v_add_u32_e32 v1, s60, v1                                  // 000000004C10: 6802023C
	v_add_u32_e32 v2, s60, v2                                  // 000000004C14: 6804043C
	v_add_u32_e32 v3, s60, v3                                  // 000000004C18: 6806063C
	v_add_u32_e32 v4, s60, v4                                  // 000000004C1C: 6808083C
	v_mov_b32_e32 v180, 0                                      // 000000004C20: 7F680280
	s_mov_b64 exec, s[90:91]                                   // 000000004C24: BEFE015A
	buffer_load_dword v180, v1, s[12:15], 0 idxen              // 000000004C28: E0502000 8003B401
	s_mov_b32 exec_lo, -1                                      // 000000004C30: BEFE00C1
	s_mov_b32 exec_hi, -1                                      // 000000004C34: BEFF00C1
	v_mov_b32_e32 v181, 0                                      // 000000004C38: 7F6A0280
	s_mov_b64 exec, s[90:91]                                   // 000000004C3C: BEFE015A
	buffer_load_dword v181, v2, s[12:15], 0 idxen              // 000000004C40: E0502000 8003B502
	s_mov_b32 exec_lo, -1                                      // 000000004C48: BEFE00C1
	s_mov_b32 exec_hi, -1                                      // 000000004C4C: BEFF00C1
	v_mov_b32_e32 v182, 0                                      // 000000004C50: 7F6C0280
	s_mov_b64 exec, s[90:91]                                   // 000000004C54: BEFE015A
	buffer_load_dword v182, v3, s[12:15], 0 idxen              // 000000004C58: E0502000 8003B603
	s_mov_b32 exec_lo, -1                                      // 000000004C60: BEFE00C1
	s_mov_b32 exec_hi, -1                                      // 000000004C64: BEFF00C1
	v_mov_b32_e32 v183, 0                                      // 000000004C68: 7F6E0280
	s_mov_b64 exec, s[90:91]                                   // 000000004C6C: BEFE015A
	buffer_load_dword v183, v4, s[12:15], 0 idxen              // 000000004C70: E0502000 8003B704
	s_mov_b32 exec_lo, -1                                      // 000000004C78: BEFE00C1
	s_mov_b32 exec_hi, -1                                      // 000000004C7C: BEFF00C1
	s_mul_i32 s60, 4, s6                                       // 000000004C80: 923C0684
	s_cmp_lt_i32 2, s72                                        // 000000004C84: BF044882
	s_cselect_b32 s60, s60, 0                                  // 000000004C88: 853C803C
	v_add_u32_e32 v1, s60, v1                                  // 000000004C8C: 6802023C
	v_add_u32_e32 v2, s60, v2                                  // 000000004C90: 6804043C
	v_add_u32_e32 v3, s60, v3                                  // 000000004C94: 6806063C
	v_add_u32_e32 v4, s60, v4                                  // 000000004C98: 6808083C
	v_mov_b32_e32 v184, 0                                      // 000000004C9C: 7F700280
	s_mov_b64 exec, s[90:91]                                   // 000000004CA0: BEFE015A
	buffer_load_dword v184, v1, s[12:15], 0 idxen              // 000000004CA4: E0502000 8003B801
	s_mov_b32 exec_lo, -1                                      // 000000004CAC: BEFE00C1
	s_mov_b32 exec_hi, -1                                      // 000000004CB0: BEFF00C1
	v_mov_b32_e32 v185, 0                                      // 000000004CB4: 7F720280
	s_mov_b64 exec, s[90:91]                                   // 000000004CB8: BEFE015A
	buffer_load_dword v185, v2, s[12:15], 0 idxen              // 000000004CBC: E0502000 8003B902
	s_mov_b32 exec_lo, -1                                      // 000000004CC4: BEFE00C1
	s_mov_b32 exec_hi, -1                                      // 000000004CC8: BEFF00C1
	v_mov_b32_e32 v186, 0                                      // 000000004CCC: 7F740280
	s_mov_b64 exec, s[90:91]                                   // 000000004CD0: BEFE015A
	buffer_load_dword v186, v3, s[12:15], 0 idxen              // 000000004CD4: E0502000 8003BA03
	s_mov_b32 exec_lo, -1                                      // 000000004CDC: BEFE00C1
	s_mov_b32 exec_hi, -1                                      // 000000004CE0: BEFF00C1
	v_mov_b32_e32 v187, 0                                      // 000000004CE4: 7F760280
	s_mov_b64 exec, s[90:91]                                   // 000000004CE8: BEFE015A
	buffer_load_dword v187, v4, s[12:15], 0 idxen              // 000000004CEC: E0502000 8003BB04
	s_mov_b32 exec_lo, -1                                      // 000000004CF4: BEFE00C1
	s_mov_b32 exec_hi, -1                                      // 000000004CF8: BEFF00C1
	s_mul_i32 s60, 4, s6                                       // 000000004CFC: 923C0684
	s_cmp_lt_i32 2, s72                                        // 000000004D00: BF044882
	s_cselect_b32 s60, s60, 0                                  // 000000004D04: 853C803C
	v_add_u32_e32 v1, s60, v1                                  // 000000004D08: 6802023C
	v_add_u32_e32 v2, s60, v2                                  // 000000004D0C: 6804043C
	v_add_u32_e32 v3, s60, v3                                  // 000000004D10: 6806063C
	v_add_u32_e32 v4, s60, v4                                  // 000000004D14: 6808083C
	v_mov_b32_e32 v188, 0                                      // 000000004D18: 7F780280
	s_mov_b64 exec, s[90:91]                                   // 000000004D1C: BEFE015A
	buffer_load_dword v188, v1, s[12:15], 0 idxen              // 000000004D20: E0502000 8003BC01
	s_mov_b32 exec_lo, -1                                      // 000000004D28: BEFE00C1
	s_mov_b32 exec_hi, -1                                      // 000000004D2C: BEFF00C1
	v_mov_b32_e32 v189, 0                                      // 000000004D30: 7F7A0280
	s_mov_b64 exec, s[90:91]                                   // 000000004D34: BEFE015A
	buffer_load_dword v189, v2, s[12:15], 0 idxen              // 000000004D38: E0502000 8003BD02
	s_mov_b32 exec_lo, -1                                      // 000000004D40: BEFE00C1
	s_mov_b32 exec_hi, -1                                      // 000000004D44: BEFF00C1
	v_mov_b32_e32 v190, 0                                      // 000000004D48: 7F7C0280
	s_mov_b64 exec, s[90:91]                                   // 000000004D4C: BEFE015A
	buffer_load_dword v190, v3, s[12:15], 0 idxen              // 000000004D50: E0502000 8003BE03
	s_mov_b32 exec_lo, -1                                      // 000000004D58: BEFE00C1
	s_mov_b32 exec_hi, -1                                      // 000000004D5C: BEFF00C1
	v_mov_b32_e32 v191, 0                                      // 000000004D60: 7F7E0280
	s_mov_b64 exec, s[90:91]                                   // 000000004D64: BEFE015A
	buffer_load_dword v191, v4, s[12:15], 0 idxen              // 000000004D68: E0502000 8003BF04
	s_mov_b32 exec_lo, -1                                      // 000000004D70: BEFE00C1
	s_mov_b32 exec_hi, -1                                      // 000000004D74: BEFF00C1
	s_mul_i32 s60, 4, s6                                       // 000000004D78: 923C0684
	s_cmp_lt_i32 2, s72                                        // 000000004D7C: BF044882
	s_cselect_b32 s60, s60, 0                                  // 000000004D80: 853C803C
	v_add_u32_e32 v1, s60, v1                                  // 000000004D84: 6802023C
	v_add_u32_e32 v2, s60, v2                                  // 000000004D88: 6804043C
	v_add_u32_e32 v3, s60, v3                                  // 000000004D8C: 6806063C
	v_add_u32_e32 v4, s60, v4                                  // 000000004D90: 6808083C
	v_mov_b32_e32 v192, 0                                      // 000000004D94: 7F800280
	s_mov_b64 exec, s[90:91]                                   // 000000004D98: BEFE015A
	buffer_load_dword v192, v1, s[12:15], 0 idxen              // 000000004D9C: E0502000 8003C001
	s_mov_b32 exec_lo, -1                                      // 000000004DA4: BEFE00C1
	s_mov_b32 exec_hi, -1                                      // 000000004DA8: BEFF00C1
	v_mov_b32_e32 v193, 0                                      // 000000004DAC: 7F820280
	s_mov_b64 exec, s[90:91]                                   // 000000004DB0: BEFE015A
	buffer_load_dword v193, v2, s[12:15], 0 idxen              // 000000004DB4: E0502000 8003C102
	s_mov_b32 exec_lo, -1                                      // 000000004DBC: BEFE00C1
	s_mov_b32 exec_hi, -1                                      // 000000004DC0: BEFF00C1
	v_mov_b32_e32 v194, 0                                      // 000000004DC4: 7F840280
	s_mov_b64 exec, s[90:91]                                   // 000000004DC8: BEFE015A
	buffer_load_dword v194, v3, s[12:15], 0 idxen              // 000000004DCC: E0502000 8003C203
	s_mov_b32 exec_lo, -1                                      // 000000004DD4: BEFE00C1
	s_mov_b32 exec_hi, -1                                      // 000000004DD8: BEFF00C1
	v_mov_b32_e32 v195, 0                                      // 000000004DDC: 7F860280
	s_mov_b64 exec, s[90:91]                                   // 000000004DE0: BEFE015A
	buffer_load_dword v195, v4, s[12:15], 0 idxen              // 000000004DE4: E0502000 8003C304
	s_mov_b32 exec_lo, -1                                      // 000000004DEC: BEFE00C1
	s_mov_b32 exec_hi, -1                                      // 000000004DF0: BEFF00C1
	s_mul_i32 s60, 4, s6                                       // 000000004DF4: 923C0684
	s_cmp_lt_i32 2, s72                                        // 000000004DF8: BF044882
	s_cselect_b32 s60, s60, 0                                  // 000000004DFC: 853C803C
	v_add_u32_e32 v1, s60, v1                                  // 000000004E00: 6802023C
	v_add_u32_e32 v2, s60, v2                                  // 000000004E04: 6804043C
	v_add_u32_e32 v3, s60, v3                                  // 000000004E08: 6806063C
	v_add_u32_e32 v4, s60, v4                                  // 000000004E0C: 6808083C
	v_mov_b32_e32 v196, 0                                      // 000000004E10: 7F880280
	s_mov_b64 exec, s[90:91]                                   // 000000004E14: BEFE015A
	buffer_load_dword v196, v1, s[12:15], 0 idxen              // 000000004E18: E0502000 8003C401
	s_mov_b32 exec_lo, -1                                      // 000000004E20: BEFE00C1
	s_mov_b32 exec_hi, -1                                      // 000000004E24: BEFF00C1
	v_mov_b32_e32 v197, 0                                      // 000000004E28: 7F8A0280
	s_mov_b64 exec, s[90:91]                                   // 000000004E2C: BEFE015A
	buffer_load_dword v197, v2, s[12:15], 0 idxen              // 000000004E30: E0502000 8003C502
	s_mov_b32 exec_lo, -1                                      // 000000004E38: BEFE00C1
	s_mov_b32 exec_hi, -1                                      // 000000004E3C: BEFF00C1
	v_mov_b32_e32 v198, 0                                      // 000000004E40: 7F8C0280
	s_mov_b64 exec, s[90:91]                                   // 000000004E44: BEFE015A
	buffer_load_dword v198, v3, s[12:15], 0 idxen              // 000000004E48: E0502000 8003C603
	s_mov_b32 exec_lo, -1                                      // 000000004E50: BEFE00C1
	s_mov_b32 exec_hi, -1                                      // 000000004E54: BEFF00C1
	v_mov_b32_e32 v199, 0                                      // 000000004E58: 7F8E0280
	s_mov_b64 exec, s[90:91]                                   // 000000004E5C: BEFE015A
	buffer_load_dword v199, v4, s[12:15], 0 idxen              // 000000004E60: E0502000 8003C704
	s_mov_b32 exec_lo, -1                                      // 000000004E68: BEFE00C1
	s_mov_b32 exec_hi, -1                                      // 000000004E6C: BEFF00C1
	s_mul_i32 s60, 4, s6                                       // 000000004E70: 923C0684
	s_cmp_lt_i32 3, s72                                        // 000000004E74: BF044883
	s_cselect_b32 s60, s60, 0                                  // 000000004E78: 853C803C
	v_add_u32_e32 v1, s60, v1                                  // 000000004E7C: 6802023C
	v_add_u32_e32 v2, s60, v2                                  // 000000004E80: 6804043C
	v_add_u32_e32 v3, s60, v3                                  // 000000004E84: 6806063C
	v_add_u32_e32 v4, s60, v4                                  // 000000004E88: 6808083C
	s_waitcnt vmcnt(32) lgkmcnt(0)                             // 000000004E8C: BF8C8070
	s_barrier                                                  // 000000004E90: BF8A0000
	s_cmp_lt_i32 0, s72                                        // 000000004E94: BF044880
	s_cbranch_scc1 label_0437                                  // 000000004E98: BF850010
	v_mov_b32_e32 v152, 0                                      // 000000004E9C: 7F300280
	v_mov_b32_e32 v153, 0                                      // 000000004EA0: 7F320280
	v_mov_b32_e32 v154, 0                                      // 000000004EA4: 7F340280
	v_mov_b32_e32 v155, 0                                      // 000000004EA8: 7F360280
	v_mov_b32_e32 v156, 0                                      // 000000004EAC: 7F380280
	v_mov_b32_e32 v157, 0                                      // 000000004EB0: 7F3A0280
	v_mov_b32_e32 v158, 0                                      // 000000004EB4: 7F3C0280
	v_mov_b32_e32 v159, 0                                      // 000000004EB8: 7F3E0280
	v_mov_b32_e32 v160, 0                                      // 000000004EBC: 7F400280
	v_mov_b32_e32 v161, 0                                      // 000000004EC0: 7F420280
	v_mov_b32_e32 v162, 0                                      // 000000004EC4: 7F440280
	v_mov_b32_e32 v163, 0                                      // 000000004EC8: 7F460280
	v_mov_b32_e32 v164, 0                                      // 000000004ECC: 7F480280
	v_mov_b32_e32 v165, 0                                      // 000000004ED0: 7F4A0280
	v_mov_b32_e32 v166, 0                                      // 000000004ED4: 7F4C0280
	v_mov_b32_e32 v167, 0                                      // 000000004ED8: 7F4E0280

0000000000004edc <label_0437>:
	v_perm_b32 v200, v153, v152, s63                           // 000000004EDC: D1ED00C8 00FF3199
	v_perm_b32 v201, v153, v152, s64                           // 000000004EE4: D1ED00C9 01033199
	v_perm_b32 v202, v155, v154, s63                           // 000000004EEC: D1ED00CA 00FF359B
	v_perm_b32 v203, v155, v154, s64                           // 000000004EF4: D1ED00CB 0103359B
	v_perm_b32 v204, v157, v156, s63                           // 000000004EFC: D1ED00CC 00FF399D
	v_perm_b32 v205, v157, v156, s64                           // 000000004F04: D1ED00CD 0103399D
	v_perm_b32 v206, v159, v158, s63                           // 000000004F0C: D1ED00CE 00FF3D9F
	v_perm_b32 v207, v159, v158, s64                           // 000000004F14: D1ED00CF 01033D9F
	v_perm_b32 v208, v161, v160, s63                           // 000000004F1C: D1ED00D0 00FF41A1
	v_perm_b32 v209, v161, v160, s64                           // 000000004F24: D1ED00D1 010341A1
	v_perm_b32 v210, v163, v162, s63                           // 000000004F2C: D1ED00D2 00FF45A3
	v_perm_b32 v211, v163, v162, s64                           // 000000004F34: D1ED00D3 010345A3
	v_perm_b32 v212, v165, v164, s63                           // 000000004F3C: D1ED00D4 00FF49A5
	v_perm_b32 v213, v165, v164, s64                           // 000000004F44: D1ED00D5 010349A5
	v_perm_b32 v214, v167, v166, s63                           // 000000004F4C: D1ED00D6 00FF4DA7
	v_perm_b32 v215, v167, v166, s64                           // 000000004F54: D1ED00D7 01034DA7
	ds_write_b32 v13, v200 offset:17408                        // 000000004F5C: D81A4400 0000C80D
	ds_write_b32 v13, v201 offset:18464                        // 000000004F64: D81A4820 0000C90D
	ds_write_b32 v13, v202 offset:17536                        // 000000004F6C: D81A4480 0000CA0D
	ds_write_b32 v13, v203 offset:18592                        // 000000004F74: D81A48A0 0000CB0D
	ds_write_b32 v13, v204 offset:21760                        // 000000004F7C: D81A5500 0000CC0D
	ds_write_b32 v13, v205 offset:22816                        // 000000004F84: D81A5920 0000CD0D
	ds_write_b32 v13, v206 offset:21888                        // 000000004F8C: D81A5580 0000CE0D
	ds_write_b32 v13, v207 offset:22944                        // 000000004F94: D81A59A0 0000CF0D
	ds_write_b32 v13, v208 offset:26112                        // 000000004F9C: D81A6600 0000D00D
	ds_write_b32 v13, v209 offset:27168                        // 000000004FA4: D81A6A20 0000D10D
	ds_write_b32 v13, v210 offset:26240                        // 000000004FAC: D81A6680 0000D20D
	ds_write_b32 v13, v211 offset:27296                        // 000000004FB4: D81A6AA0 0000D30D
	ds_write_b32 v13, v212 offset:30464                        // 000000004FBC: D81A7700 0000D40D
	ds_write_b32 v13, v213 offset:31520                        // 000000004FC4: D81A7B20 0000D50D
	ds_write_b32 v13, v214 offset:30592                        // 000000004FCC: D81A7780 0000D60D
	ds_write_b32 v13, v215 offset:31648                        // 000000004FD4: D81A7BA0 0000D70D
	ds_write_b32 v11, v152                                     // 000000004FDC: D81A0000 0000980B
	ds_write_b32 v11, v153 offset:1056                         // 000000004FE4: D81A0420 0000990B
	ds_write_b32 v11, v154 offset:128                          // 000000004FEC: D81A0080 00009A0B
	ds_write_b32 v11, v155 offset:1184                         // 000000004FF4: D81A04A0 00009B0B
	ds_write_b32 v11, v156 offset:4352                         // 000000004FFC: D81A1100 00009C0B
	ds_write_b32 v11, v157 offset:5408                         // 000000005004: D81A1520 00009D0B
	ds_write_b32 v11, v158 offset:4480                         // 00000000500C: D81A1180 00009E0B
	ds_write_b32 v11, v159 offset:5536                         // 000000005014: D81A15A0 00009F0B
	ds_write_b32 v11, v160 offset:8704                         // 00000000501C: D81A2200 0000A00B
	ds_write_b32 v11, v161 offset:9760                         // 000000005024: D81A2620 0000A10B
	ds_write_b32 v11, v162 offset:8832                         // 00000000502C: D81A2280 0000A20B
	ds_write_b32 v11, v163 offset:9888                         // 000000005034: D81A26A0 0000A30B
	ds_write_b32 v11, v164 offset:13056                        // 00000000503C: D81A3300 0000A40B
	ds_write_b32 v11, v165 offset:14112                        // 000000005044: D81A3720 0000A50B
	ds_write_b32 v11, v166 offset:13184                        // 00000000504C: D81A3380 0000A60B
	ds_write_b32 v11, v167 offset:14240                        // 000000005054: D81A37A0 0000A70B
	v_mov_b32_e32 v152, 0                                      // 00000000505C: 7F300280
	s_mov_b64 exec, s[90:91]                                   // 000000005060: BEFE015A
	buffer_load_dword v152, v252, s[16:19], 0 idxen            // 000000005064: E0502000 800498FC
	s_mov_b32 exec_lo, -1                                      // 00000000506C: BEFE00C1
	s_mov_b32 exec_hi, -1                                      // 000000005070: BEFF00C1
	v_mov_b32_e32 v153, 0                                      // 000000005074: 7F320280
	s_mov_b64 exec, s[90:91]                                   // 000000005078: BEFE015A
	buffer_load_dword v153, v253, s[16:19], 0 idxen            // 00000000507C: E0502000 800499FD
	s_mov_b32 exec_lo, -1                                      // 000000005084: BEFE00C1
	s_mov_b32 exec_hi, -1                                      // 000000005088: BEFF00C1
	v_mov_b32_e32 v154, 0                                      // 00000000508C: 7F340280
	s_mov_b64 exec, s[90:91]                                   // 000000005090: BEFE015A
	buffer_load_dword v154, v254, s[16:19], 0 idxen            // 000000005094: E0502000 80049AFE
	s_mov_b32 exec_lo, -1                                      // 00000000509C: BEFE00C1
	s_mov_b32 exec_hi, -1                                      // 0000000050A0: BEFF00C1
	v_mov_b32_e32 v155, 0                                      // 0000000050A4: 7F360280
	s_mov_b64 exec, s[90:91]                                   // 0000000050A8: BEFE015A
	buffer_load_dword v155, v255, s[16:19], 0 idxen            // 0000000050AC: E0502000 80049BFF
	s_mov_b32 exec_lo, -1                                      // 0000000050B4: BEFE00C1
	s_mov_b32 exec_hi, -1                                      // 0000000050B8: BEFF00C1
	s_mul_i32 s60, 4, s7                                       // 0000000050BC: 923C0784
	s_cmp_lt_i32 0, s72                                        // 0000000050C0: BF044880
	s_cselect_b32 s60, s60, 0                                  // 0000000050C4: 853C803C
	v_add_u32_e32 v252, s60, v252                              // 0000000050C8: 69F9F83C
	v_add_u32_e32 v253, s60, v253                              // 0000000050CC: 69FBFA3C
	v_add_u32_e32 v254, s60, v254                              // 0000000050D0: 69FDFC3C
	v_add_u32_e32 v255, s60, v255                              // 0000000050D4: 69FFFE3C
	v_mov_b32_e32 v156, 0                                      // 0000000050D8: 7F380280
	s_mov_b64 exec, s[90:91]                                   // 0000000050DC: BEFE015A
	buffer_load_dword v156, v252, s[16:19], 0 idxen            // 0000000050E0: E0502000 80049CFC
	s_mov_b32 exec_lo, -1                                      // 0000000050E8: BEFE00C1
	s_mov_b32 exec_hi, -1                                      // 0000000050EC: BEFF00C1
	v_mov_b32_e32 v157, 0                                      // 0000000050F0: 7F3A0280
	s_mov_b64 exec, s[90:91]                                   // 0000000050F4: BEFE015A
	buffer_load_dword v157, v253, s[16:19], 0 idxen            // 0000000050F8: E0502000 80049DFD
	s_mov_b32 exec_lo, -1                                      // 000000005100: BEFE00C1
	s_mov_b32 exec_hi, -1                                      // 000000005104: BEFF00C1
	v_mov_b32_e32 v158, 0                                      // 000000005108: 7F3C0280
	s_mov_b64 exec, s[90:91]                                   // 00000000510C: BEFE015A
	buffer_load_dword v158, v254, s[16:19], 0 idxen            // 000000005110: E0502000 80049EFE
	s_mov_b32 exec_lo, -1                                      // 000000005118: BEFE00C1
	s_mov_b32 exec_hi, -1                                      // 00000000511C: BEFF00C1
	v_mov_b32_e32 v159, 0                                      // 000000005120: 7F3E0280
	s_mov_b64 exec, s[90:91]                                   // 000000005124: BEFE015A
	buffer_load_dword v159, v255, s[16:19], 0 idxen            // 000000005128: E0502000 80049FFF
	s_mov_b32 exec_lo, -1                                      // 000000005130: BEFE00C1
	s_mov_b32 exec_hi, -1                                      // 000000005134: BEFF00C1
	s_mul_i32 s60, 4, s7                                       // 000000005138: 923C0784
	s_cmp_lt_i32 0, s72                                        // 00000000513C: BF044880
	s_cselect_b32 s60, s60, 0                                  // 000000005140: 853C803C
	v_add_u32_e32 v252, s60, v252                              // 000000005144: 69F9F83C
	v_add_u32_e32 v253, s60, v253                              // 000000005148: 69FBFA3C
	v_add_u32_e32 v254, s60, v254                              // 00000000514C: 69FDFC3C
	v_add_u32_e32 v255, s60, v255                              // 000000005150: 69FFFE3C
	v_mov_b32_e32 v160, 0                                      // 000000005154: 7F400280
	s_mov_b64 exec, s[90:91]                                   // 000000005158: BEFE015A
	buffer_load_dword v160, v252, s[16:19], 0 idxen            // 00000000515C: E0502000 8004A0FC
	s_mov_b32 exec_lo, -1                                      // 000000005164: BEFE00C1
	s_mov_b32 exec_hi, -1                                      // 000000005168: BEFF00C1
	v_mov_b32_e32 v161, 0                                      // 00000000516C: 7F420280
	s_mov_b64 exec, s[90:91]                                   // 000000005170: BEFE015A
	buffer_load_dword v161, v253, s[16:19], 0 idxen            // 000000005174: E0502000 8004A1FD
	s_mov_b32 exec_lo, -1                                      // 00000000517C: BEFE00C1
	s_mov_b32 exec_hi, -1                                      // 000000005180: BEFF00C1
	v_mov_b32_e32 v162, 0                                      // 000000005184: 7F440280
	s_mov_b64 exec, s[90:91]                                   // 000000005188: BEFE015A
	buffer_load_dword v162, v254, s[16:19], 0 idxen            // 00000000518C: E0502000 8004A2FE
	s_mov_b32 exec_lo, -1                                      // 000000005194: BEFE00C1
	s_mov_b32 exec_hi, -1                                      // 000000005198: BEFF00C1
	v_mov_b32_e32 v163, 0                                      // 00000000519C: 7F460280
	s_mov_b64 exec, s[90:91]                                   // 0000000051A0: BEFE015A
	buffer_load_dword v163, v255, s[16:19], 0 idxen            // 0000000051A4: E0502000 8004A3FF
	s_mov_b32 exec_lo, -1                                      // 0000000051AC: BEFE00C1
	s_mov_b32 exec_hi, -1                                      // 0000000051B0: BEFF00C1
	s_mul_i32 s60, 4, s7                                       // 0000000051B4: 923C0784
	s_cmp_lt_i32 0, s72                                        // 0000000051B8: BF044880
	s_cselect_b32 s60, s60, 0                                  // 0000000051BC: 853C803C
	v_add_u32_e32 v252, s60, v252                              // 0000000051C0: 69F9F83C
	v_add_u32_e32 v253, s60, v253                              // 0000000051C4: 69FBFA3C
	v_add_u32_e32 v254, s60, v254                              // 0000000051C8: 69FDFC3C
	v_add_u32_e32 v255, s60, v255                              // 0000000051CC: 69FFFE3C
	v_mov_b32_e32 v164, 0                                      // 0000000051D0: 7F480280
	s_mov_b64 exec, s[90:91]                                   // 0000000051D4: BEFE015A
	buffer_load_dword v164, v252, s[16:19], 0 idxen            // 0000000051D8: E0502000 8004A4FC
	s_mov_b32 exec_lo, -1                                      // 0000000051E0: BEFE00C1
	s_mov_b32 exec_hi, -1                                      // 0000000051E4: BEFF00C1
	v_mov_b32_e32 v165, 0                                      // 0000000051E8: 7F4A0280
	s_mov_b64 exec, s[90:91]                                   // 0000000051EC: BEFE015A
	buffer_load_dword v165, v253, s[16:19], 0 idxen            // 0000000051F0: E0502000 8004A5FD
	s_mov_b32 exec_lo, -1                                      // 0000000051F8: BEFE00C1
	s_mov_b32 exec_hi, -1                                      // 0000000051FC: BEFF00C1
	v_mov_b32_e32 v166, 0                                      // 000000005200: 7F4C0280
	s_mov_b64 exec, s[90:91]                                   // 000000005204: BEFE015A
	buffer_load_dword v166, v254, s[16:19], 0 idxen            // 000000005208: E0502000 8004A6FE
	s_mov_b32 exec_lo, -1                                      // 000000005210: BEFE00C1
	s_mov_b32 exec_hi, -1                                      // 000000005214: BEFF00C1
	v_mov_b32_e32 v167, 0                                      // 000000005218: 7F4E0280
	s_mov_b64 exec, s[90:91]                                   // 00000000521C: BEFE015A
	buffer_load_dword v167, v255, s[16:19], 0 idxen            // 000000005220: E0502000 8004A7FF
	s_mov_b32 exec_lo, -1                                      // 000000005228: BEFE00C1
	s_mov_b32 exec_hi, -1                                      // 00000000522C: BEFF00C1
	s_mul_i32 s60, 4, s7                                       // 000000005230: 923C0784
	s_cmp_lt_i32 1, s72                                        // 000000005234: BF044881
	s_cselect_b32 s60, s60, 0                                  // 000000005238: 853C803C
	v_add_u32_e32 v252, s60, v252                              // 00000000523C: 69F9F83C
	v_add_u32_e32 v253, s60, v253                              // 000000005240: 69FBFA3C
	v_add_u32_e32 v254, s60, v254                              // 000000005244: 69FDFC3C
	v_add_u32_e32 v255, s60, v255                              // 000000005248: 69FFFE3C
	s_waitcnt lgkmcnt(0)                                       // 00000000524C: BF8CC07F
	s_barrier                                                  // 000000005250: BF8A0000
	ds_read_b128 a[48:51], v23 offset:17408                    // 000000005254: DBFE4400 30000017
	ds_read_b128 a[52:55], v23 offset:17664                    // 00000000525C: DBFE4500 34000017
	ds_read_b128 a[56:59], v23 offset:26112                    // 000000005264: DBFE6600 38000017
	ds_read_b128 a[60:63], v23 offset:26368                    // 00000000526C: DBFE6700 3C000017
	ds_read_b128 a[0:3], v22                                   // 000000005274: DBFE0000 00000016
	ds_read_b128 a[4:7], v22 offset:512                        // 00000000527C: DBFE0200 04000016
	ds_read_b128 a[8:11], v22 offset:2176                      // 000000005284: DBFE0880 08000016
	ds_read_b128 a[12:15], v22 offset:2688                     // 00000000528C: DBFE0A80 0C000016
	s_waitcnt vmcnt(32) lgkmcnt(0)                             // 000000005294: BF8C8070
	s_barrier                                                  // 000000005298: BF8A0000
	s_cmp_lt_i32 1, s72                                        // 00000000529C: BF044881
	s_cbranch_scc1 label_0539                                  // 0000000052A0: BF850010
	v_mov_b32_e32 v168, 0                                      // 0000000052A4: 7F500280
	v_mov_b32_e32 v169, 0                                      // 0000000052A8: 7F520280
	v_mov_b32_e32 v170, 0                                      // 0000000052AC: 7F540280
	v_mov_b32_e32 v171, 0                                      // 0000000052B0: 7F560280
	v_mov_b32_e32 v172, 0                                      // 0000000052B4: 7F580280
	v_mov_b32_e32 v173, 0                                      // 0000000052B8: 7F5A0280
	v_mov_b32_e32 v174, 0                                      // 0000000052BC: 7F5C0280
	v_mov_b32_e32 v175, 0                                      // 0000000052C0: 7F5E0280
	v_mov_b32_e32 v176, 0                                      // 0000000052C4: 7F600280
	v_mov_b32_e32 v177, 0                                      // 0000000052C8: 7F620280
	v_mov_b32_e32 v178, 0                                      // 0000000052CC: 7F640280
	v_mov_b32_e32 v179, 0                                      // 0000000052D0: 7F660280
	v_mov_b32_e32 v180, 0                                      // 0000000052D4: 7F680280
	v_mov_b32_e32 v181, 0                                      // 0000000052D8: 7F6A0280
	v_mov_b32_e32 v182, 0                                      // 0000000052DC: 7F6C0280
	v_mov_b32_e32 v183, 0                                      // 0000000052E0: 7F6E0280

00000000000052e4 <label_0539>:
	v_perm_b32 v200, v169, v168, s63                           // 0000000052E4: D1ED00C8 00FF51A9
	v_perm_b32 v201, v169, v168, s64                           // 0000000052EC: D1ED00C9 010351A9
	v_perm_b32 v202, v171, v170, s63                           // 0000000052F4: D1ED00CA 00FF55AB
	v_perm_b32 v203, v171, v170, s64                           // 0000000052FC: D1ED00CB 010355AB
	v_perm_b32 v204, v173, v172, s63                           // 000000005304: D1ED00CC 00FF59AD
	v_perm_b32 v205, v173, v172, s64                           // 00000000530C: D1ED00CD 010359AD
	v_perm_b32 v206, v175, v174, s63                           // 000000005314: D1ED00CE 00FF5DAF
	v_perm_b32 v207, v175, v174, s64                           // 00000000531C: D1ED00CF 01035DAF
	v_perm_b32 v208, v177, v176, s63                           // 000000005324: D1ED00D0 00FF61B1
	v_perm_b32 v209, v177, v176, s64                           // 00000000532C: D1ED00D1 010361B1
	v_perm_b32 v210, v179, v178, s63                           // 000000005334: D1ED00D2 00FF65B3
	v_perm_b32 v211, v179, v178, s64                           // 00000000533C: D1ED00D3 010365B3
	v_perm_b32 v212, v181, v180, s63                           // 000000005344: D1ED00D4 00FF69B5
	v_perm_b32 v213, v181, v180, s64                           // 00000000534C: D1ED00D5 010369B5
	v_perm_b32 v214, v183, v182, s63                           // 000000005354: D1ED00D6 00FF6DB7
	v_perm_b32 v215, v183, v182, s64                           // 00000000535C: D1ED00D7 01036DB7
	ds_write_b32 v13, v200 offset:17408                        // 000000005364: D81A4400 0000C80D
	ds_write_b32 v13, v201 offset:18464                        // 00000000536C: D81A4820 0000C90D
	ds_write_b32 v13, v202 offset:17536                        // 000000005374: D81A4480 0000CA0D
	ds_write_b32 v13, v203 offset:18592                        // 00000000537C: D81A48A0 0000CB0D
	ds_write_b32 v13, v204 offset:21760                        // 000000005384: D81A5500 0000CC0D
	ds_write_b32 v13, v205 offset:22816                        // 00000000538C: D81A5920 0000CD0D
	ds_write_b32 v13, v206 offset:21888                        // 000000005394: D81A5580 0000CE0D
	ds_write_b32 v13, v207 offset:22944                        // 00000000539C: D81A59A0 0000CF0D
	ds_write_b32 v13, v208 offset:26112                        // 0000000053A4: D81A6600 0000D00D
	ds_write_b32 v13, v209 offset:27168                        // 0000000053AC: D81A6A20 0000D10D
	ds_write_b32 v13, v210 offset:26240                        // 0000000053B4: D81A6680 0000D20D
	ds_write_b32 v13, v211 offset:27296                        // 0000000053BC: D81A6AA0 0000D30D
	ds_write_b32 v13, v212 offset:30464                        // 0000000053C4: D81A7700 0000D40D
	ds_write_b32 v13, v213 offset:31520                        // 0000000053CC: D81A7B20 0000D50D
	ds_write_b32 v13, v214 offset:30592                        // 0000000053D4: D81A7780 0000D60D
	ds_write_b32 v13, v215 offset:31648                        // 0000000053DC: D81A7BA0 0000D70D
	ds_write_b32 v11, v168                                     // 0000000053E4: D81A0000 0000A80B
	ds_write_b32 v11, v169 offset:1056                         // 0000000053EC: D81A0420 0000A90B
	ds_write_b32 v11, v170 offset:128                          // 0000000053F4: D81A0080 0000AA0B
	ds_write_b32 v11, v171 offset:1184                         // 0000000053FC: D81A04A0 0000AB0B
	ds_write_b32 v11, v172 offset:4352                         // 000000005404: D81A1100 0000AC0B
	ds_write_b32 v11, v173 offset:5408                         // 00000000540C: D81A1520 0000AD0B
	ds_write_b32 v11, v174 offset:4480                         // 000000005414: D81A1180 0000AE0B
	ds_write_b32 v11, v175 offset:5536                         // 00000000541C: D81A15A0 0000AF0B
	ds_write_b32 v11, v176 offset:8704                         // 000000005424: D81A2200 0000B00B
	ds_write_b32 v11, v177 offset:9760                         // 00000000542C: D81A2620 0000B10B
	ds_write_b32 v11, v178 offset:8832                         // 000000005434: D81A2280 0000B20B
	ds_write_b32 v11, v179 offset:9888                         // 00000000543C: D81A26A0 0000B30B
	ds_write_b32 v11, v180 offset:13056                        // 000000005444: D81A3300 0000B40B
	ds_write_b32 v11, v181 offset:14112                        // 00000000544C: D81A3720 0000B50B
	ds_write_b32 v11, v182 offset:13184                        // 000000005454: D81A3380 0000B60B
	ds_write_b32 v11, v183 offset:14240                        // 00000000545C: D81A37A0 0000B70B
	v_mov_b32_e32 v168, 0                                      // 000000005464: 7F500280
	s_mov_b64 exec, s[90:91]                                   // 000000005468: BEFE015A
	buffer_load_dword v168, v252, s[16:19], 0 idxen            // 00000000546C: E0502000 8004A8FC
	s_mov_b32 exec_lo, -1                                      // 000000005474: BEFE00C1
	s_mov_b32 exec_hi, -1                                      // 000000005478: BEFF00C1
	v_mov_b32_e32 v169, 0                                      // 00000000547C: 7F520280
	s_mov_b64 exec, s[90:91]                                   // 000000005480: BEFE015A
	buffer_load_dword v169, v253, s[16:19], 0 idxen            // 000000005484: E0502000 8004A9FD
	s_mov_b32 exec_lo, -1                                      // 00000000548C: BEFE00C1
	s_mov_b32 exec_hi, -1                                      // 000000005490: BEFF00C1
	v_mov_b32_e32 v170, 0                                      // 000000005494: 7F540280
	s_mov_b64 exec, s[90:91]                                   // 000000005498: BEFE015A
	buffer_load_dword v170, v254, s[16:19], 0 idxen            // 00000000549C: E0502000 8004AAFE
	s_mov_b32 exec_lo, -1                                      // 0000000054A4: BEFE00C1
	s_mov_b32 exec_hi, -1                                      // 0000000054A8: BEFF00C1
	v_mov_b32_e32 v171, 0                                      // 0000000054AC: 7F560280
	s_mov_b64 exec, s[90:91]                                   // 0000000054B0: BEFE015A
	buffer_load_dword v171, v255, s[16:19], 0 idxen            // 0000000054B4: E0502000 8004ABFF
	s_mov_b32 exec_lo, -1                                      // 0000000054BC: BEFE00C1
	s_mov_b32 exec_hi, -1                                      // 0000000054C0: BEFF00C1
	s_mul_i32 s60, 4, s7                                       // 0000000054C4: 923C0784
	s_cmp_lt_i32 1, s72                                        // 0000000054C8: BF044881
	s_cselect_b32 s60, s60, 0                                  // 0000000054CC: 853C803C
	v_add_u32_e32 v252, s60, v252                              // 0000000054D0: 69F9F83C
	v_add_u32_e32 v253, s60, v253                              // 0000000054D4: 69FBFA3C
	v_add_u32_e32 v254, s60, v254                              // 0000000054D8: 69FDFC3C
	v_add_u32_e32 v255, s60, v255                              // 0000000054DC: 69FFFE3C
	v_mov_b32_e32 v172, 0                                      // 0000000054E0: 7F580280
	s_mov_b64 exec, s[90:91]                                   // 0000000054E4: BEFE015A
	buffer_load_dword v172, v252, s[16:19], 0 idxen            // 0000000054E8: E0502000 8004ACFC
	s_mov_b32 exec_lo, -1                                      // 0000000054F0: BEFE00C1
	s_mov_b32 exec_hi, -1                                      // 0000000054F4: BEFF00C1
	v_mov_b32_e32 v173, 0                                      // 0000000054F8: 7F5A0280
	s_mov_b64 exec, s[90:91]                                   // 0000000054FC: BEFE015A
	buffer_load_dword v173, v253, s[16:19], 0 idxen            // 000000005500: E0502000 8004ADFD
	s_mov_b32 exec_lo, -1                                      // 000000005508: BEFE00C1
	s_mov_b32 exec_hi, -1                                      // 00000000550C: BEFF00C1
	v_mov_b32_e32 v174, 0                                      // 000000005510: 7F5C0280
	s_mov_b64 exec, s[90:91]                                   // 000000005514: BEFE015A
	buffer_load_dword v174, v254, s[16:19], 0 idxen            // 000000005518: E0502000 8004AEFE
	s_mov_b32 exec_lo, -1                                      // 000000005520: BEFE00C1
	s_mov_b32 exec_hi, -1                                      // 000000005524: BEFF00C1
	v_mov_b32_e32 v175, 0                                      // 000000005528: 7F5E0280
	s_mov_b64 exec, s[90:91]                                   // 00000000552C: BEFE015A
	buffer_load_dword v175, v255, s[16:19], 0 idxen            // 000000005530: E0502000 8004AFFF
	s_mov_b32 exec_lo, -1                                      // 000000005538: BEFE00C1
	s_mov_b32 exec_hi, -1                                      // 00000000553C: BEFF00C1
	s_mul_i32 s60, 4, s7                                       // 000000005540: 923C0784
	s_cmp_lt_i32 1, s72                                        // 000000005544: BF044881
	s_cselect_b32 s60, s60, 0                                  // 000000005548: 853C803C
	v_add_u32_e32 v252, s60, v252                              // 00000000554C: 69F9F83C
	v_add_u32_e32 v253, s60, v253                              // 000000005550: 69FBFA3C
	v_add_u32_e32 v254, s60, v254                              // 000000005554: 69FDFC3C
	v_add_u32_e32 v255, s60, v255                              // 000000005558: 69FFFE3C
	v_mov_b32_e32 v176, 0                                      // 00000000555C: 7F600280
	s_mov_b64 exec, s[90:91]                                   // 000000005560: BEFE015A
	buffer_load_dword v176, v252, s[16:19], 0 idxen            // 000000005564: E0502000 8004B0FC
	s_mov_b32 exec_lo, -1                                      // 00000000556C: BEFE00C1
	s_mov_b32 exec_hi, -1                                      // 000000005570: BEFF00C1
	v_mov_b32_e32 v177, 0                                      // 000000005574: 7F620280
	s_mov_b64 exec, s[90:91]                                   // 000000005578: BEFE015A
	buffer_load_dword v177, v253, s[16:19], 0 idxen            // 00000000557C: E0502000 8004B1FD
	s_mov_b32 exec_lo, -1                                      // 000000005584: BEFE00C1
	s_mov_b32 exec_hi, -1                                      // 000000005588: BEFF00C1
	v_mov_b32_e32 v178, 0                                      // 00000000558C: 7F640280
	s_mov_b64 exec, s[90:91]                                   // 000000005590: BEFE015A
	buffer_load_dword v178, v254, s[16:19], 0 idxen            // 000000005594: E0502000 8004B2FE
	s_mov_b32 exec_lo, -1                                      // 00000000559C: BEFE00C1
	s_mov_b32 exec_hi, -1                                      // 0000000055A0: BEFF00C1
	v_mov_b32_e32 v179, 0                                      // 0000000055A4: 7F660280
	s_mov_b64 exec, s[90:91]                                   // 0000000055A8: BEFE015A
	buffer_load_dword v179, v255, s[16:19], 0 idxen            // 0000000055AC: E0502000 8004B3FF
	s_mov_b32 exec_lo, -1                                      // 0000000055B4: BEFE00C1
	s_mov_b32 exec_hi, -1                                      // 0000000055B8: BEFF00C1
	s_mul_i32 s60, 4, s7                                       // 0000000055BC: 923C0784
	s_cmp_lt_i32 1, s72                                        // 0000000055C0: BF044881
	s_cselect_b32 s60, s60, 0                                  // 0000000055C4: 853C803C
	v_add_u32_e32 v252, s60, v252                              // 0000000055C8: 69F9F83C
	v_add_u32_e32 v253, s60, v253                              // 0000000055CC: 69FBFA3C
	v_add_u32_e32 v254, s60, v254                              // 0000000055D0: 69FDFC3C
	v_add_u32_e32 v255, s60, v255                              // 0000000055D4: 69FFFE3C
	v_mov_b32_e32 v180, 0                                      // 0000000055D8: 7F680280
	s_mov_b64 exec, s[90:91]                                   // 0000000055DC: BEFE015A
	buffer_load_dword v180, v252, s[16:19], 0 idxen            // 0000000055E0: E0502000 8004B4FC
	s_mov_b32 exec_lo, -1                                      // 0000000055E8: BEFE00C1
	s_mov_b32 exec_hi, -1                                      // 0000000055EC: BEFF00C1
	v_mov_b32_e32 v181, 0                                      // 0000000055F0: 7F6A0280
	s_mov_b64 exec, s[90:91]                                   // 0000000055F4: BEFE015A
	buffer_load_dword v181, v253, s[16:19], 0 idxen            // 0000000055F8: E0502000 8004B5FD
	s_mov_b32 exec_lo, -1                                      // 000000005600: BEFE00C1
	s_mov_b32 exec_hi, -1                                      // 000000005604: BEFF00C1
	v_mov_b32_e32 v182, 0                                      // 000000005608: 7F6C0280
	s_mov_b64 exec, s[90:91]                                   // 00000000560C: BEFE015A
	buffer_load_dword v182, v254, s[16:19], 0 idxen            // 000000005610: E0502000 8004B6FE
	s_mov_b32 exec_lo, -1                                      // 000000005618: BEFE00C1
	s_mov_b32 exec_hi, -1                                      // 00000000561C: BEFF00C1
	v_mov_b32_e32 v183, 0                                      // 000000005620: 7F6E0280
	s_mov_b64 exec, s[90:91]                                   // 000000005624: BEFE015A
	buffer_load_dword v183, v255, s[16:19], 0 idxen            // 000000005628: E0502000 8004B7FF
	s_mov_b32 exec_lo, -1                                      // 000000005630: BEFE00C1
	s_mov_b32 exec_hi, -1                                      // 000000005634: BEFF00C1
	s_mul_i32 s60, 4, s7                                       // 000000005638: 923C0784
	s_cmp_lt_i32 2, s72                                        // 00000000563C: BF044882
	s_cselect_b32 s60, s60, 0                                  // 000000005640: 853C803C
	v_add_u32_e32 v252, s60, v252                              // 000000005644: 69F9F83C
	v_add_u32_e32 v253, s60, v253                              // 000000005648: 69FBFA3C
	v_add_u32_e32 v254, s60, v254                              // 00000000564C: 69FDFC3C
	v_add_u32_e32 v255, s60, v255                              // 000000005650: 69FFFE3C
	s_waitcnt lgkmcnt(0)                                       // 000000005654: BF8CC07F
	s_barrier                                                  // 000000005658: BF8A0000
	ds_read_b128 a[64:67], v23 offset:17408                    // 00000000565C: DBFE4400 40000017
	ds_read_b128 a[68:71], v23 offset:17664                    // 000000005664: DBFE4500 44000017
	ds_read_b128 a[72:75], v23 offset:26112                    // 00000000566C: DBFE6600 48000017
	ds_read_b128 a[76:79], v23 offset:26368                    // 000000005674: DBFE6700 4C000017
	ds_read_b128 a[16:19], v22                                 // 00000000567C: DBFE0000 10000016
	ds_read_b128 a[20:23], v22 offset:512                      // 000000005684: DBFE0200 14000016
	ds_read_b128 a[24:27], v22 offset:2176                     // 00000000568C: DBFE0880 18000016
	ds_read_b128 a[28:31], v22 offset:2688                     // 000000005694: DBFE0A80 1C000016
	s_waitcnt vmcnt(32) lgkmcnt(0)                             // 00000000569C: BF8C8070
	s_barrier                                                  // 0000000056A0: BF8A0000
	s_cmp_lt_i32 2, s72                                        // 0000000056A4: BF044882
	s_cbranch_scc1 label_063B                                  // 0000000056A8: BF850010
	v_mov_b32_e32 v184, 0                                      // 0000000056AC: 7F700280
	v_mov_b32_e32 v185, 0                                      // 0000000056B0: 7F720280
	v_mov_b32_e32 v186, 0                                      // 0000000056B4: 7F740280
	v_mov_b32_e32 v187, 0                                      // 0000000056B8: 7F760280
	v_mov_b32_e32 v188, 0                                      // 0000000056BC: 7F780280
	v_mov_b32_e32 v189, 0                                      // 0000000056C0: 7F7A0280
	v_mov_b32_e32 v190, 0                                      // 0000000056C4: 7F7C0280
	v_mov_b32_e32 v191, 0                                      // 0000000056C8: 7F7E0280
	v_mov_b32_e32 v192, 0                                      // 0000000056CC: 7F800280
	v_mov_b32_e32 v193, 0                                      // 0000000056D0: 7F820280
	v_mov_b32_e32 v194, 0                                      // 0000000056D4: 7F840280
	v_mov_b32_e32 v195, 0                                      // 0000000056D8: 7F860280
	v_mov_b32_e32 v196, 0                                      // 0000000056DC: 7F880280
	v_mov_b32_e32 v197, 0                                      // 0000000056E0: 7F8A0280
	v_mov_b32_e32 v198, 0                                      // 0000000056E4: 7F8C0280
	v_mov_b32_e32 v199, 0                                      // 0000000056E8: 7F8E0280

00000000000056ec <label_063B>:
	v_perm_b32 v200, v185, v184, s63                           // 0000000056EC: D1ED00C8 00FF71B9
	v_perm_b32 v201, v185, v184, s64                           // 0000000056F4: D1ED00C9 010371B9
	v_perm_b32 v202, v187, v186, s63                           // 0000000056FC: D1ED00CA 00FF75BB
	v_perm_b32 v203, v187, v186, s64                           // 000000005704: D1ED00CB 010375BB
	v_perm_b32 v204, v189, v188, s63                           // 00000000570C: D1ED00CC 00FF79BD
	v_perm_b32 v205, v189, v188, s64                           // 000000005714: D1ED00CD 010379BD
	v_perm_b32 v206, v191, v190, s63                           // 00000000571C: D1ED00CE 00FF7DBF
	v_perm_b32 v207, v191, v190, s64                           // 000000005724: D1ED00CF 01037DBF
	v_perm_b32 v208, v193, v192, s63                           // 00000000572C: D1ED00D0 00FF81C1
	v_perm_b32 v209, v193, v192, s64                           // 000000005734: D1ED00D1 010381C1
	v_perm_b32 v210, v195, v194, s63                           // 00000000573C: D1ED00D2 00FF85C3
	v_perm_b32 v211, v195, v194, s64                           // 000000005744: D1ED00D3 010385C3
	v_perm_b32 v212, v197, v196, s63                           // 00000000574C: D1ED00D4 00FF89C5
	v_perm_b32 v213, v197, v196, s64                           // 000000005754: D1ED00D5 010389C5
	v_perm_b32 v214, v199, v198, s63                           // 00000000575C: D1ED00D6 00FF8DC7
	v_perm_b32 v215, v199, v198, s64                           // 000000005764: D1ED00D7 01038DC7
	ds_write_b32 v13, v200 offset:17408                        // 00000000576C: D81A4400 0000C80D
	ds_write_b32 v13, v201 offset:18464                        // 000000005774: D81A4820 0000C90D
	ds_write_b32 v13, v202 offset:17536                        // 00000000577C: D81A4480 0000CA0D
	ds_write_b32 v13, v203 offset:18592                        // 000000005784: D81A48A0 0000CB0D
	ds_write_b32 v13, v204 offset:21760                        // 00000000578C: D81A5500 0000CC0D
	ds_write_b32 v13, v205 offset:22816                        // 000000005794: D81A5920 0000CD0D
	ds_write_b32 v13, v206 offset:21888                        // 00000000579C: D81A5580 0000CE0D
	ds_write_b32 v13, v207 offset:22944                        // 0000000057A4: D81A59A0 0000CF0D
	ds_write_b32 v13, v208 offset:26112                        // 0000000057AC: D81A6600 0000D00D
	ds_write_b32 v13, v209 offset:27168                        // 0000000057B4: D81A6A20 0000D10D
	ds_write_b32 v13, v210 offset:26240                        // 0000000057BC: D81A6680 0000D20D
	ds_write_b32 v13, v211 offset:27296                        // 0000000057C4: D81A6AA0 0000D30D
	ds_write_b32 v13, v212 offset:30464                        // 0000000057CC: D81A7700 0000D40D
	ds_write_b32 v13, v213 offset:31520                        // 0000000057D4: D81A7B20 0000D50D
	ds_write_b32 v13, v214 offset:30592                        // 0000000057DC: D81A7780 0000D60D
	ds_write_b32 v13, v215 offset:31648                        // 0000000057E4: D81A7BA0 0000D70D
	ds_write_b32 v11, v184                                     // 0000000057EC: D81A0000 0000B80B
	ds_write_b32 v11, v185 offset:1056                         // 0000000057F4: D81A0420 0000B90B
	ds_write_b32 v11, v186 offset:128                          // 0000000057FC: D81A0080 0000BA0B
	ds_write_b32 v11, v187 offset:1184                         // 000000005804: D81A04A0 0000BB0B
	ds_write_b32 v11, v188 offset:4352                         // 00000000580C: D81A1100 0000BC0B
	ds_write_b32 v11, v189 offset:5408                         // 000000005814: D81A1520 0000BD0B
	ds_write_b32 v11, v190 offset:4480                         // 00000000581C: D81A1180 0000BE0B
	ds_write_b32 v11, v191 offset:5536                         // 000000005824: D81A15A0 0000BF0B
	ds_write_b32 v11, v192 offset:8704                         // 00000000582C: D81A2200 0000C00B
	ds_write_b32 v11, v193 offset:9760                         // 000000005834: D81A2620 0000C10B
	ds_write_b32 v11, v194 offset:8832                         // 00000000583C: D81A2280 0000C20B
	ds_write_b32 v11, v195 offset:9888                         // 000000005844: D81A26A0 0000C30B
	ds_write_b32 v11, v196 offset:13056                        // 00000000584C: D81A3300 0000C40B
	ds_write_b32 v11, v197 offset:14112                        // 000000005854: D81A3720 0000C50B
	ds_write_b32 v11, v198 offset:13184                        // 00000000585C: D81A3380 0000C60B
	ds_write_b32 v11, v199 offset:14240                        // 000000005864: D81A37A0 0000C70B
	v_mov_b32_e32 v184, 0                                      // 00000000586C: 7F700280
	s_mov_b64 exec, s[90:91]                                   // 000000005870: BEFE015A
	buffer_load_dword v184, v252, s[16:19], 0 idxen            // 000000005874: E0502000 8004B8FC
	s_mov_b32 exec_lo, -1                                      // 00000000587C: BEFE00C1
	s_mov_b32 exec_hi, -1                                      // 000000005880: BEFF00C1
	v_mov_b32_e32 v185, 0                                      // 000000005884: 7F720280
	s_mov_b64 exec, s[90:91]                                   // 000000005888: BEFE015A
	buffer_load_dword v185, v253, s[16:19], 0 idxen            // 00000000588C: E0502000 8004B9FD
	s_mov_b32 exec_lo, -1                                      // 000000005894: BEFE00C1
	s_mov_b32 exec_hi, -1                                      // 000000005898: BEFF00C1
	v_mov_b32_e32 v186, 0                                      // 00000000589C: 7F740280
	s_mov_b64 exec, s[90:91]                                   // 0000000058A0: BEFE015A
	buffer_load_dword v186, v254, s[16:19], 0 idxen            // 0000000058A4: E0502000 8004BAFE
	s_mov_b32 exec_lo, -1                                      // 0000000058AC: BEFE00C1
	s_mov_b32 exec_hi, -1                                      // 0000000058B0: BEFF00C1
	v_mov_b32_e32 v187, 0                                      // 0000000058B4: 7F760280
	s_mov_b64 exec, s[90:91]                                   // 0000000058B8: BEFE015A
	buffer_load_dword v187, v255, s[16:19], 0 idxen            // 0000000058BC: E0502000 8004BBFF
	s_mov_b32 exec_lo, -1                                      // 0000000058C4: BEFE00C1
	s_mov_b32 exec_hi, -1                                      // 0000000058C8: BEFF00C1
	s_mul_i32 s60, 4, s7                                       // 0000000058CC: 923C0784
	s_cmp_lt_i32 2, s72                                        // 0000000058D0: BF044882
	s_cselect_b32 s60, s60, 0                                  // 0000000058D4: 853C803C
	v_add_u32_e32 v252, s60, v252                              // 0000000058D8: 69F9F83C
	v_add_u32_e32 v253, s60, v253                              // 0000000058DC: 69FBFA3C
	v_add_u32_e32 v254, s60, v254                              // 0000000058E0: 69FDFC3C
	v_add_u32_e32 v255, s60, v255                              // 0000000058E4: 69FFFE3C
	v_mov_b32_e32 v188, 0                                      // 0000000058E8: 7F780280
	s_mov_b64 exec, s[90:91]                                   // 0000000058EC: BEFE015A
	buffer_load_dword v188, v252, s[16:19], 0 idxen            // 0000000058F0: E0502000 8004BCFC
	s_mov_b32 exec_lo, -1                                      // 0000000058F8: BEFE00C1
	s_mov_b32 exec_hi, -1                                      // 0000000058FC: BEFF00C1
	v_mov_b32_e32 v189, 0                                      // 000000005900: 7F7A0280
	s_mov_b64 exec, s[90:91]                                   // 000000005904: BEFE015A
	buffer_load_dword v189, v253, s[16:19], 0 idxen            // 000000005908: E0502000 8004BDFD
	s_mov_b32 exec_lo, -1                                      // 000000005910: BEFE00C1
	s_mov_b32 exec_hi, -1                                      // 000000005914: BEFF00C1
	v_mov_b32_e32 v190, 0                                      // 000000005918: 7F7C0280
	s_mov_b64 exec, s[90:91]                                   // 00000000591C: BEFE015A
	buffer_load_dword v190, v254, s[16:19], 0 idxen            // 000000005920: E0502000 8004BEFE
	s_mov_b32 exec_lo, -1                                      // 000000005928: BEFE00C1
	s_mov_b32 exec_hi, -1                                      // 00000000592C: BEFF00C1
	v_mov_b32_e32 v191, 0                                      // 000000005930: 7F7E0280
	s_mov_b64 exec, s[90:91]                                   // 000000005934: BEFE015A
	buffer_load_dword v191, v255, s[16:19], 0 idxen            // 000000005938: E0502000 8004BFFF
	s_mov_b32 exec_lo, -1                                      // 000000005940: BEFE00C1
	s_mov_b32 exec_hi, -1                                      // 000000005944: BEFF00C1
	s_mul_i32 s60, 4, s7                                       // 000000005948: 923C0784
	s_cmp_lt_i32 2, s72                                        // 00000000594C: BF044882
	s_cselect_b32 s60, s60, 0                                  // 000000005950: 853C803C
	v_add_u32_e32 v252, s60, v252                              // 000000005954: 69F9F83C
	v_add_u32_e32 v253, s60, v253                              // 000000005958: 69FBFA3C
	v_add_u32_e32 v254, s60, v254                              // 00000000595C: 69FDFC3C
	v_add_u32_e32 v255, s60, v255                              // 000000005960: 69FFFE3C
	v_mov_b32_e32 v192, 0                                      // 000000005964: 7F800280
	s_mov_b64 exec, s[90:91]                                   // 000000005968: BEFE015A
	buffer_load_dword v192, v252, s[16:19], 0 idxen            // 00000000596C: E0502000 8004C0FC
	s_mov_b32 exec_lo, -1                                      // 000000005974: BEFE00C1
	s_mov_b32 exec_hi, -1                                      // 000000005978: BEFF00C1
	v_mov_b32_e32 v193, 0                                      // 00000000597C: 7F820280
	s_mov_b64 exec, s[90:91]                                   // 000000005980: BEFE015A
	buffer_load_dword v193, v253, s[16:19], 0 idxen            // 000000005984: E0502000 8004C1FD
	s_mov_b32 exec_lo, -1                                      // 00000000598C: BEFE00C1
	s_mov_b32 exec_hi, -1                                      // 000000005990: BEFF00C1
	v_mov_b32_e32 v194, 0                                      // 000000005994: 7F840280
	s_mov_b64 exec, s[90:91]                                   // 000000005998: BEFE015A
	buffer_load_dword v194, v254, s[16:19], 0 idxen            // 00000000599C: E0502000 8004C2FE
	s_mov_b32 exec_lo, -1                                      // 0000000059A4: BEFE00C1
	s_mov_b32 exec_hi, -1                                      // 0000000059A8: BEFF00C1
	v_mov_b32_e32 v195, 0                                      // 0000000059AC: 7F860280
	s_mov_b64 exec, s[90:91]                                   // 0000000059B0: BEFE015A
	buffer_load_dword v195, v255, s[16:19], 0 idxen            // 0000000059B4: E0502000 8004C3FF
	s_mov_b32 exec_lo, -1                                      // 0000000059BC: BEFE00C1
	s_mov_b32 exec_hi, -1                                      // 0000000059C0: BEFF00C1
	s_mul_i32 s60, 4, s7                                       // 0000000059C4: 923C0784
	s_cmp_lt_i32 2, s72                                        // 0000000059C8: BF044882
	s_cselect_b32 s60, s60, 0                                  // 0000000059CC: 853C803C
	v_add_u32_e32 v252, s60, v252                              // 0000000059D0: 69F9F83C
	v_add_u32_e32 v253, s60, v253                              // 0000000059D4: 69FBFA3C
	v_add_u32_e32 v254, s60, v254                              // 0000000059D8: 69FDFC3C
	v_add_u32_e32 v255, s60, v255                              // 0000000059DC: 69FFFE3C
	v_mov_b32_e32 v196, 0                                      // 0000000059E0: 7F880280
	s_mov_b64 exec, s[90:91]                                   // 0000000059E4: BEFE015A
	buffer_load_dword v196, v252, s[16:19], 0 idxen            // 0000000059E8: E0502000 8004C4FC
	s_mov_b32 exec_lo, -1                                      // 0000000059F0: BEFE00C1
	s_mov_b32 exec_hi, -1                                      // 0000000059F4: BEFF00C1
	v_mov_b32_e32 v197, 0                                      // 0000000059F8: 7F8A0280
	s_mov_b64 exec, s[90:91]                                   // 0000000059FC: BEFE015A
	buffer_load_dword v197, v253, s[16:19], 0 idxen            // 000000005A00: E0502000 8004C5FD
	s_mov_b32 exec_lo, -1                                      // 000000005A08: BEFE00C1
	s_mov_b32 exec_hi, -1                                      // 000000005A0C: BEFF00C1
	v_mov_b32_e32 v198, 0                                      // 000000005A10: 7F8C0280
	s_mov_b64 exec, s[90:91]                                   // 000000005A14: BEFE015A
	buffer_load_dword v198, v254, s[16:19], 0 idxen            // 000000005A18: E0502000 8004C6FE
	s_mov_b32 exec_lo, -1                                      // 000000005A20: BEFE00C1
	s_mov_b32 exec_hi, -1                                      // 000000005A24: BEFF00C1
	v_mov_b32_e32 v199, 0                                      // 000000005A28: 7F8E0280
	s_mov_b64 exec, s[90:91]                                   // 000000005A2C: BEFE015A
	buffer_load_dword v199, v255, s[16:19], 0 idxen            // 000000005A30: E0502000 8004C7FF
	s_mov_b32 exec_lo, -1                                      // 000000005A38: BEFE00C1
	s_mov_b32 exec_hi, -1                                      // 000000005A3C: BEFF00C1
	s_mul_i32 s60, 4, s7                                       // 000000005A40: 923C0784
	s_cmp_lt_i32 3, s72                                        // 000000005A44: BF044883
	s_cselect_b32 s60, s60, 0                                  // 000000005A48: 853C803C
	v_add_u32_e32 v252, s60, v252                              // 000000005A4C: 69F9F83C
	v_add_u32_e32 v253, s60, v253                              // 000000005A50: 69FBFA3C
	v_add_u32_e32 v254, s60, v254                              // 000000005A54: 69FDFC3C
	v_add_u32_e32 v255, s60, v255                              // 000000005A58: 69FFFE3C
	s_waitcnt lgkmcnt(0)                                       // 000000005A5C: BF8CC07F
	s_barrier                                                  // 000000005A60: BF8A0000
	ds_read_b128 a[80:83], v23 offset:17408                    // 000000005A64: DBFE4400 50000017
	ds_read_b128 a[84:87], v23 offset:17664                    // 000000005A6C: DBFE4500 54000017
	ds_read_b128 a[88:91], v23 offset:26112                    // 000000005A74: DBFE6600 58000017
	ds_read_b128 a[92:95], v23 offset:26368                    // 000000005A7C: DBFE6700 5C000017
	ds_read_b128 a[32:35], v22                                 // 000000005A84: DBFE0000 20000016
	ds_read_b128 a[36:39], v22 offset:512                      // 000000005A8C: DBFE0200 24000016
	ds_read_b128 a[40:43], v22 offset:2176                     // 000000005A94: DBFE0880 28000016
	ds_read_b128 a[44:47], v22 offset:2688                     // 000000005A9C: DBFE0A80 2C000016
	s_waitcnt vmcnt(32) lgkmcnt(0)                             // 000000005AA4: BF8C8070
	s_barrier                                                  // 000000005AA8: BF8A0000
	s_cmp_lt_i32 0, s72                                        // 000000005AAC: BF044880
	s_cbranch_scc1 label_073D                                  // 000000005AB0: BF850010
	v_mov_b32_e32 v152, 0                                      // 000000005AB4: 7F300280
	v_mov_b32_e32 v153, 0                                      // 000000005AB8: 7F320280
	v_mov_b32_e32 v154, 0                                      // 000000005ABC: 7F340280
	v_mov_b32_e32 v155, 0                                      // 000000005AC0: 7F360280
	v_mov_b32_e32 v156, 0                                      // 000000005AC4: 7F380280
	v_mov_b32_e32 v157, 0                                      // 000000005AC8: 7F3A0280
	v_mov_b32_e32 v158, 0                                      // 000000005ACC: 7F3C0280
	v_mov_b32_e32 v159, 0                                      // 000000005AD0: 7F3E0280
	v_mov_b32_e32 v160, 0                                      // 000000005AD4: 7F400280
	v_mov_b32_e32 v161, 0                                      // 000000005AD8: 7F420280
	v_mov_b32_e32 v162, 0                                      // 000000005ADC: 7F440280
	v_mov_b32_e32 v163, 0                                      // 000000005AE0: 7F460280
	v_mov_b32_e32 v164, 0                                      // 000000005AE4: 7F480280
	v_mov_b32_e32 v165, 0                                      // 000000005AE8: 7F4A0280
	v_mov_b32_e32 v166, 0                                      // 000000005AEC: 7F4C0280
	v_mov_b32_e32 v167, 0                                      // 000000005AF0: 7F4E0280

0000000000005af4 <label_073D>:
	ds_write_b32 v11, v152                                     // 000000005AF4: D81A0000 0000980B
	ds_write_b32 v11, v153 offset:1056                         // 000000005AFC: D81A0420 0000990B
	ds_write_b32 v11, v154 offset:128                          // 000000005B04: D81A0080 00009A0B
	ds_write_b32 v11, v155 offset:1184                         // 000000005B0C: D81A04A0 00009B0B
	ds_write_b32 v11, v156 offset:4352                         // 000000005B14: D81A1100 00009C0B
	ds_write_b32 v11, v157 offset:5408                         // 000000005B1C: D81A1520 00009D0B
	ds_write_b32 v11, v158 offset:4480                         // 000000005B24: D81A1180 00009E0B
	ds_write_b32 v11, v159 offset:5536                         // 000000005B2C: D81A15A0 00009F0B
	ds_write_b32 v11, v160 offset:8704                         // 000000005B34: D81A2200 0000A00B
	ds_write_b32 v11, v161 offset:9760                         // 000000005B3C: D81A2620 0000A10B
	ds_write_b32 v11, v162 offset:8832                         // 000000005B44: D81A2280 0000A20B
	ds_write_b32 v11, v163 offset:9888                         // 000000005B4C: D81A26A0 0000A30B
	ds_write_b32 v11, v164 offset:13056                        // 000000005B54: D81A3300 0000A40B
	ds_write_b32 v11, v165 offset:14112                        // 000000005B5C: D81A3720 0000A50B
	ds_write_b32 v11, v166 offset:13184                        // 000000005B64: D81A3380 0000A60B
	ds_write_b32 v11, v167 offset:14240                        // 000000005B6C: D81A37A0 0000A70B
	s_mov_b32 s71, s5                                          // 000000005B74: BEC70005
	v_lshrrev_b32_e32 v28, 4, v0                               // 000000005B78: 20380084
	v_and_b32_e32 v29, 1, v28                                  // 000000005B7C: 263A3881
	v_lshlrev_b32_e32 v29, 1, v29                              // 000000005B80: 243A3A81
	v_mul_i32_i24_e32 v29, s71, v29                            // 000000005B84: 0C3A3A47
	v_and_b32_e32 v30, 2, v28                                  // 000000005B88: 263C3882
	v_lshlrev_b32_e32 v30, 5, v30                              // 000000005B8C: 243C3C85
	v_add_u32_e32 v29, v30, v29                                // 000000005B90: 683A3B1E
	v_and_b32_e32 v28, 15, v0                                  // 000000005B94: 2638008F
	v_lshlrev_b32_e32 v28, 2, v28                              // 000000005B98: 24383882
	v_add_u32_e32 v1, v28, v29                                 // 000000005B9C: 68023B1C
	s_and_b32 s60, 1, s46                                      // 000000005BA0: 863C2E81
	s_mul_i32 s60, s60, s71                                    // 000000005BA4: 923C473C
	s_mul_i32 s60, s60, 8                                      // 000000005BA8: 923C883C
	s_lshr_b32 s61, s46, 1                                     // 000000005BAC: 8F3D812E
	s_mul_i32 s61, s61, 0x80                                   // 000000005BB0: 923DFF3D 00000080
	s_add_u32 s60, s60, s61                                    // 000000005BB8: 803C3D3C
	v_add_u32_e32 v1, s60, v1                                  // 000000005BBC: 6802023C
	v_add_u32_e32 v2, s71, v1                                  // 000000005BC0: 68040247
	s_mul_i32 s60, 4, s71                                      // 000000005BC4: 923C4784
	v_add_u32_e32 v3, s60, v1                                  // 000000005BC8: 6806023C
	v_add_u32_e32 v4, s60, v2                                  // 000000005BCC: 6808043C
	s_mov_b32 s71, s51                                         // 000000005BD0: BEC70033
	v_lshrrev_b32_e32 v28, 4, v0                               // 000000005BD4: 20380084
	v_and_b32_e32 v29, 1, v28                                  // 000000005BD8: 263A3881
	v_lshlrev_b32_e32 v29, 1, v29                              // 000000005BDC: 243A3A81
	v_mul_i32_i24_e32 v29, s71, v29                            // 000000005BE0: 0C3A3A47
	v_and_b32_e32 v30, 2, v28                                  // 000000005BE4: 263C3882
	v_lshlrev_b32_e32 v30, 5, v30                              // 000000005BE8: 243C3C85
	v_add_u32_e32 v29, v30, v29                                // 000000005BEC: 683A3B1E
	v_and_b32_e32 v28, 15, v0                                  // 000000005BF0: 2638008F
	v_lshlrev_b32_e32 v28, 2, v28                              // 000000005BF4: 24383882
	v_add_u32_e32 v252, v28, v29                               // 000000005BF8: 69F83B1C
	s_and_b32 s60, 1, s46                                      // 000000005BFC: 863C2E81
	s_mul_i32 s60, s60, s71                                    // 000000005C00: 923C473C
	s_mul_i32 s60, s60, 8                                      // 000000005C04: 923C883C
	s_lshr_b32 s61, s46, 1                                     // 000000005C08: 8F3D812E
	s_mul_i32 s61, s61, 0x80                                   // 000000005C0C: 923DFF3D 00000080
	s_add_u32 s60, s60, s61                                    // 000000005C14: 803C3D3C
	v_add_u32_e32 v252, s60, v252                              // 000000005C18: 69F9F83C
	v_add_u32_e32 v253, s71, v252                              // 000000005C1C: 69FBF847
	s_mul_i32 s60, 4, s71                                      // 000000005C20: 923C4784
	v_add_u32_e32 v254, s60, v252                              // 000000005C24: 69FDF83C
	v_add_u32_e32 v255, s60, v253                              // 000000005C28: 69FFFA3C
	v_lshrrev_b32_e32 v1, 2, v1                                // 000000005C2C: 20020282
	v_lshrrev_b32_e32 v2, 2, v2                                // 000000005C30: 20040482
	v_lshrrev_b32_e32 v3, 2, v3                                // 000000005C34: 20060682
	v_lshrrev_b32_e32 v4, 2, v4                                // 000000005C38: 20080882
	v_lshrrev_b32_e32 v252, 2, v252                            // 000000005C3C: 21F9F882
	v_lshrrev_b32_e32 v253, 2, v253                            // 000000005C40: 21FBFA82
	v_lshrrev_b32_e32 v254, 2, v254                            // 000000005C44: 21FDFC82
	v_lshrrev_b32_e32 v255, 2, v255                            // 000000005C48: 21FFFE82
	v_mov_b32_e32 v32, 0                                       // 000000005C4C: 7E400280
	s_mov_b64 exec, s[90:91]                                   // 000000005C50: BEFE015A
	buffer_load_dword v32, v1, s[8:11], 0 idxen                // 000000005C54: E0502000 80022001
	s_mov_b32 exec_lo, -1                                      // 000000005C5C: BEFE00C1
	s_mov_b32 exec_hi, -1                                      // 000000005C60: BEFF00C1
	v_mov_b32_e32 v33, 0                                       // 000000005C64: 7E420280
	s_mov_b64 exec, s[90:91]                                   // 000000005C68: BEFE015A
	buffer_load_dword v33, v2, s[8:11], 0 idxen                // 000000005C6C: E0502000 80022102
	s_mov_b32 exec_lo, -1                                      // 000000005C74: BEFE00C1
	s_mov_b32 exec_hi, -1                                      // 000000005C78: BEFF00C1
	v_mov_b32_e32 v34, 0                                       // 000000005C7C: 7E440280
	s_mov_b64 exec, s[90:91]                                   // 000000005C80: BEFE015A
	buffer_load_dword v34, v3, s[8:11], 0 idxen                // 000000005C84: E0502000 80022203
	s_mov_b32 exec_lo, -1                                      // 000000005C8C: BEFE00C1
	s_mov_b32 exec_hi, -1                                      // 000000005C90: BEFF00C1
	v_mov_b32_e32 v35, 0                                       // 000000005C94: 7E460280
	s_mov_b64 exec, s[90:91]                                   // 000000005C98: BEFE015A
	buffer_load_dword v35, v4, s[8:11], 0 idxen                // 000000005C9C: E0502000 80022304
	s_mov_b32 exec_lo, -1                                      // 000000005CA4: BEFE00C1
	s_mov_b32 exec_hi, -1                                      // 000000005CA8: BEFF00C1
	v_mov_b32_e32 v40, 0                                       // 000000005CAC: 7E500280
	s_mov_b64 exec, s[90:91]                                   // 000000005CB0: BEFE015A
	buffer_load_dword v40, v252, s[20:23], 0 idxen             // 000000005CB4: E0502000 800528FC
	s_mov_b32 exec_lo, -1                                      // 000000005CBC: BEFE00C1
	s_mov_b32 exec_hi, -1                                      // 000000005CC0: BEFF00C1
	v_mov_b32_e32 v41, 0                                       // 000000005CC4: 7E520280
	s_mov_b64 exec, s[90:91]                                   // 000000005CC8: BEFE015A
	buffer_load_dword v41, v253, s[20:23], 0 idxen             // 000000005CCC: E0502000 800529FD
	s_mov_b32 exec_lo, -1                                      // 000000005CD4: BEFE00C1
	s_mov_b32 exec_hi, -1                                      // 000000005CD8: BEFF00C1
	v_mov_b32_e32 v42, 0                                       // 000000005CDC: 7E540280
	s_mov_b64 exec, s[90:91]                                   // 000000005CE0: BEFE015A
	buffer_load_dword v42, v254, s[20:23], 0 idxen             // 000000005CE4: E0502000 80052AFE
	s_mov_b32 exec_lo, -1                                      // 000000005CEC: BEFE00C1
	s_mov_b32 exec_hi, -1                                      // 000000005CF0: BEFF00C1
	v_mov_b32_e32 v43, 0                                       // 000000005CF4: 7E560280
	s_mov_b64 exec, s[90:91]                                   // 000000005CF8: BEFE015A
	buffer_load_dword v43, v255, s[20:23], 0 idxen             // 000000005CFC: E0502000 80052BFF
	s_mov_b32 exec_lo, -1                                      // 000000005D04: BEFE00C1
	s_mov_b32 exec_hi, -1                                      // 000000005D08: BEFF00C1
	s_waitcnt lgkmcnt(0)                                       // 000000005D0C: BF8CC07F
	s_barrier                                                  // 000000005D10: BF8A0000
	ds_read_b128 a[96:99], v22                                 // 000000005D14: DBFE0000 60000016
	ds_read_b128 a[100:103], v22 offset:512                    // 000000005D1C: DBFE0200 64000016
	ds_read_b128 a[104:107], v22 offset:2176                   // 000000005D24: DBFE0880 68000016
	ds_read_b128 a[108:111], v22 offset:2688                   // 000000005D2C: DBFE0A80 6C000016
	v_add_u32_e32 v1, s68, v1                                  // 000000005D34: 68020244
	v_add_u32_e32 v2, s68, v2                                  // 000000005D38: 68040444
	v_add_u32_e32 v3, s68, v3                                  // 000000005D3C: 68060644
	v_add_u32_e32 v4, s68, v4                                  // 000000005D40: 68080844
	v_add_u32_e32 v252, s99, v252                              // 000000005D44: 69F9F863
	v_add_u32_e32 v253, s99, v253                              // 000000005D48: 69FBFA63
	v_add_u32_e32 v254, s99, v254                              // 000000005D4C: 69FDFC63
	v_add_u32_e32 v255, s99, v255                              // 000000005D50: 69FFFE63
	s_waitcnt vmcnt(24) lgkmcnt(0)                             // 000000005D54: BF8C4078
	s_barrier                                                  // 000000005D58: BF8A0000
	s_cmp_lt_i32 1, s72                                        // 000000005D5C: BF044881
	s_cbranch_scc1 label_07E9                                  // 000000005D60: BF850010
	v_mov_b32_e32 v168, 0                                      // 000000005D64: 7F500280
	v_mov_b32_e32 v169, 0                                      // 000000005D68: 7F520280
	v_mov_b32_e32 v170, 0                                      // 000000005D6C: 7F540280
	v_mov_b32_e32 v171, 0                                      // 000000005D70: 7F560280
	v_mov_b32_e32 v172, 0                                      // 000000005D74: 7F580280
	v_mov_b32_e32 v173, 0                                      // 000000005D78: 7F5A0280
	v_mov_b32_e32 v174, 0                                      // 000000005D7C: 7F5C0280
	v_mov_b32_e32 v175, 0                                      // 000000005D80: 7F5E0280
	v_mov_b32_e32 v176, 0                                      // 000000005D84: 7F600280
	v_mov_b32_e32 v177, 0                                      // 000000005D88: 7F620280
	v_mov_b32_e32 v178, 0                                      // 000000005D8C: 7F640280
	v_mov_b32_e32 v179, 0                                      // 000000005D90: 7F660280
	v_mov_b32_e32 v180, 0                                      // 000000005D94: 7F680280
	v_mov_b32_e32 v181, 0                                      // 000000005D98: 7F6A0280
	v_mov_b32_e32 v182, 0                                      // 000000005D9C: 7F6C0280
	v_mov_b32_e32 v183, 0                                      // 000000005DA0: 7F6E0280

0000000000005da4 <label_07E9>:
	ds_write_b32 v11, v168                                     // 000000005DA4: D81A0000 0000A80B
	ds_write_b32 v11, v169 offset:1056                         // 000000005DAC: D81A0420 0000A90B
	ds_write_b32 v11, v170 offset:128                          // 000000005DB4: D81A0080 0000AA0B
	ds_write_b32 v11, v171 offset:1184                         // 000000005DBC: D81A04A0 0000AB0B
	ds_write_b32 v11, v172 offset:4352                         // 000000005DC4: D81A1100 0000AC0B
	ds_write_b32 v11, v173 offset:5408                         // 000000005DCC: D81A1520 0000AD0B
	ds_write_b32 v11, v174 offset:4480                         // 000000005DD4: D81A1180 0000AE0B
	ds_write_b32 v11, v175 offset:5536                         // 000000005DDC: D81A15A0 0000AF0B
	ds_write_b32 v11, v176 offset:8704                         // 000000005DE4: D81A2200 0000B00B
	ds_write_b32 v11, v177 offset:9760                         // 000000005DEC: D81A2620 0000B10B
	ds_write_b32 v11, v178 offset:8832                         // 000000005DF4: D81A2280 0000B20B
	ds_write_b32 v11, v179 offset:9888                         // 000000005DFC: D81A26A0 0000B30B
	ds_write_b32 v11, v180 offset:13056                        // 000000005E04: D81A3300 0000B40B
	ds_write_b32 v11, v181 offset:14112                        // 000000005E0C: D81A3720 0000B50B
	ds_write_b32 v11, v182 offset:13184                        // 000000005E14: D81A3380 0000B60B
	ds_write_b32 v11, v183 offset:14240                        // 000000005E1C: D81A37A0 0000B70B
	v_mov_b32_e32 v36, 0                                       // 000000005E24: 7E480280
	s_mov_b64 exec, s[90:91]                                   // 000000005E28: BEFE015A
	buffer_load_dword v36, v1, s[8:11], 0 idxen                // 000000005E2C: E0502000 80022401
	s_mov_b32 exec_lo, -1                                      // 000000005E34: BEFE00C1
	s_mov_b32 exec_hi, -1                                      // 000000005E38: BEFF00C1
	v_mov_b32_e32 v37, 0                                       // 000000005E3C: 7E4A0280
	s_mov_b64 exec, s[90:91]                                   // 000000005E40: BEFE015A
	buffer_load_dword v37, v2, s[8:11], 0 idxen                // 000000005E44: E0502000 80022502
	s_mov_b32 exec_lo, -1                                      // 000000005E4C: BEFE00C1
	s_mov_b32 exec_hi, -1                                      // 000000005E50: BEFF00C1
	v_mov_b32_e32 v38, 0                                       // 000000005E54: 7E4C0280
	s_mov_b64 exec, s[90:91]                                   // 000000005E58: BEFE015A
	buffer_load_dword v38, v3, s[8:11], 0 idxen                // 000000005E5C: E0502000 80022603
	s_mov_b32 exec_lo, -1                                      // 000000005E64: BEFE00C1
	s_mov_b32 exec_hi, -1                                      // 000000005E68: BEFF00C1
	v_mov_b32_e32 v39, 0                                       // 000000005E6C: 7E4E0280
	s_mov_b64 exec, s[90:91]                                   // 000000005E70: BEFE015A
	buffer_load_dword v39, v4, s[8:11], 0 idxen                // 000000005E74: E0502000 80022704
	s_mov_b32 exec_lo, -1                                      // 000000005E7C: BEFE00C1
	s_mov_b32 exec_hi, -1                                      // 000000005E80: BEFF00C1
	v_mov_b32_e32 v44, 0                                       // 000000005E84: 7E580280
	s_mov_b64 exec, s[90:91]                                   // 000000005E88: BEFE015A
	buffer_load_dword v44, v252, s[20:23], 0 idxen             // 000000005E8C: E0502000 80052CFC
	s_mov_b32 exec_lo, -1                                      // 000000005E94: BEFE00C1
	s_mov_b32 exec_hi, -1                                      // 000000005E98: BEFF00C1
	v_mov_b32_e32 v45, 0                                       // 000000005E9C: 7E5A0280
	s_mov_b64 exec, s[90:91]                                   // 000000005EA0: BEFE015A
	buffer_load_dword v45, v253, s[20:23], 0 idxen             // 000000005EA4: E0502000 80052DFD
	s_mov_b32 exec_lo, -1                                      // 000000005EAC: BEFE00C1
	s_mov_b32 exec_hi, -1                                      // 000000005EB0: BEFF00C1
	v_mov_b32_e32 v46, 0                                       // 000000005EB4: 7E5C0280
	s_mov_b64 exec, s[90:91]                                   // 000000005EB8: BEFE015A
	buffer_load_dword v46, v254, s[20:23], 0 idxen             // 000000005EBC: E0502000 80052EFE
	s_mov_b32 exec_lo, -1                                      // 000000005EC4: BEFE00C1
	s_mov_b32 exec_hi, -1                                      // 000000005EC8: BEFF00C1
	v_mov_b32_e32 v47, 0                                       // 000000005ECC: 7E5E0280
	s_mov_b64 exec, s[90:91]                                   // 000000005ED0: BEFE015A
	buffer_load_dword v47, v255, s[20:23], 0 idxen             // 000000005ED4: E0502000 80052FFF
	s_mov_b32 exec_lo, -1                                      // 000000005EDC: BEFE00C1
	s_mov_b32 exec_hi, -1                                      // 000000005EE0: BEFF00C1
	s_waitcnt lgkmcnt(0)                                       // 000000005EE4: BF8CC07F
	s_barrier                                                  // 000000005EE8: BF8A0000
	ds_read_b128 a[112:115], v22                               // 000000005EEC: DBFE0000 70000016
	ds_read_b128 a[116:119], v22 offset:512                    // 000000005EF4: DBFE0200 74000016
	ds_read_b128 a[120:123], v22 offset:2176                   // 000000005EFC: DBFE0880 78000016
	ds_read_b128 a[124:127], v22 offset:2688                   // 000000005F04: DBFE0A80 7C000016
	v_add_u32_e32 v1, s68, v1                                  // 000000005F0C: 68020244
	v_add_u32_e32 v2, s68, v2                                  // 000000005F10: 68040444
	v_add_u32_e32 v3, s68, v3                                  // 000000005F14: 68060644
	v_add_u32_e32 v4, s68, v4                                  // 000000005F18: 68080844
	v_add_u32_e32 v252, s99, v252                              // 000000005F1C: 69F9F863
	v_add_u32_e32 v253, s99, v253                              // 000000005F20: 69FBFA63
	v_add_u32_e32 v254, s99, v254                              // 000000005F24: 69FDFC63
	v_add_u32_e32 v255, s99, v255                              // 000000005F28: 69FFFE63
	s_waitcnt vmcnt(16) lgkmcnt(0)                             // 000000005F2C: BF8C4070
	s_barrier                                                  // 000000005F30: BF8A0000
	s_cmp_lt_i32 2, s72                                        // 000000005F34: BF044882
	s_cbranch_scc1 label_085F                                  // 000000005F38: BF850010
	v_mov_b32_e32 v184, 0                                      // 000000005F3C: 7F700280
	v_mov_b32_e32 v185, 0                                      // 000000005F40: 7F720280
	v_mov_b32_e32 v186, 0                                      // 000000005F44: 7F740280
	v_mov_b32_e32 v187, 0                                      // 000000005F48: 7F760280
	v_mov_b32_e32 v188, 0                                      // 000000005F4C: 7F780280
	v_mov_b32_e32 v189, 0                                      // 000000005F50: 7F7A0280
	v_mov_b32_e32 v190, 0                                      // 000000005F54: 7F7C0280
	v_mov_b32_e32 v191, 0                                      // 000000005F58: 7F7E0280
	v_mov_b32_e32 v192, 0                                      // 000000005F5C: 7F800280
	v_mov_b32_e32 v193, 0                                      // 000000005F60: 7F820280
	v_mov_b32_e32 v194, 0                                      // 000000005F64: 7F840280
	v_mov_b32_e32 v195, 0                                      // 000000005F68: 7F860280
	v_mov_b32_e32 v196, 0                                      // 000000005F6C: 7F880280
	v_mov_b32_e32 v197, 0                                      // 000000005F70: 7F8A0280
	v_mov_b32_e32 v198, 0                                      // 000000005F74: 7F8C0280
	v_mov_b32_e32 v199, 0                                      // 000000005F78: 7F8E0280

0000000000005f7c <label_085F>:
	ds_write_b32 v11, v184                                     // 000000005F7C: D81A0000 0000B80B
	ds_write_b32 v11, v185 offset:1056                         // 000000005F84: D81A0420 0000B90B
	ds_write_b32 v11, v186 offset:128                          // 000000005F8C: D81A0080 0000BA0B
	ds_write_b32 v11, v187 offset:1184                         // 000000005F94: D81A04A0 0000BB0B
	ds_write_b32 v11, v188 offset:4352                         // 000000005F9C: D81A1100 0000BC0B
	ds_write_b32 v11, v189 offset:5408                         // 000000005FA4: D81A1520 0000BD0B
	ds_write_b32 v11, v190 offset:4480                         // 000000005FAC: D81A1180 0000BE0B
	ds_write_b32 v11, v191 offset:5536                         // 000000005FB4: D81A15A0 0000BF0B
	ds_write_b32 v11, v192 offset:8704                         // 000000005FBC: D81A2200 0000C00B
	ds_write_b32 v11, v193 offset:9760                         // 000000005FC4: D81A2620 0000C10B
	ds_write_b32 v11, v194 offset:8832                         // 000000005FCC: D81A2280 0000C20B
	ds_write_b32 v11, v195 offset:9888                         // 000000005FD4: D81A26A0 0000C30B
	ds_write_b32 v11, v196 offset:13056                        // 000000005FDC: D81A3300 0000C40B
	ds_write_b32 v11, v197 offset:14112                        // 000000005FE4: D81A3720 0000C50B
	ds_write_b32 v11, v198 offset:13184                        // 000000005FEC: D81A3380 0000C60B
	ds_write_b32 v11, v199 offset:14240                        // 000000005FF4: D81A37A0 0000C70B
	s_waitcnt lgkmcnt(0)                                       // 000000005FFC: BF8CC07F
	s_barrier                                                  // 000000006000: BF8A0000
	ds_read_b128 a[128:131], v22                               // 000000006004: DBFE0000 80000016
	ds_read_b128 a[132:135], v22 offset:512                    // 00000000600C: DBFE0200 84000016
	ds_read_b128 a[136:139], v22 offset:2176                   // 000000006014: DBFE0880 88000016
	ds_read_b128 a[140:143], v22 offset:2688                   // 00000000601C: DBFE0A80 8C000016
	s_waitcnt vmcnt(8) lgkmcnt(0)                              // 000000006024: BF8C0078
	s_barrier                                                  // 000000006028: BF8A0000
	buffer_load_dword v9, s[24:27], 0 idxen lds                // 00000000602C: E0512000 80060009
	s_mov_b32 m0, s81                                          // 000000006034: BEFC0051
	v_add_u32_e32 v9, s69, v9                                  // 000000006038: 68121245
	v_perm_b32 v84, v33, v32, s63                              // 00000000603C: D1ED0054 00FE4121
	v_perm_b32 v85, v33, v32, s64                              // 000000006044: D1ED0055 01024121
	v_perm_b32 v86, v35, v34, s63                              // 00000000604C: D1ED0056 00FE4523
	v_perm_b32 v87, v35, v34, s64                              // 000000006054: D1ED0057 01024523
	ds_write_b32 v13, v84 offset:4352                          // 00000000605C: D81A1100 0000540D
	ds_write_b32 v13, v85 offset:5408                          // 000000006064: D81A1520 0000550D
	ds_write_b32 v13, v86 offset:4480                          // 00000000606C: D81A1180 0000560D
	ds_write_b32 v13, v87 offset:5536                          // 000000006074: D81A15A0 0000570D
	ds_write_b32 v11, v32                                      // 00000000607C: D81A0000 0000200B
	ds_write_b32 v11, v33 offset:1056                          // 000000006084: D81A0420 0000210B
	ds_write_b32 v11, v34 offset:128                           // 00000000608C: D81A0080 0000220B
	ds_write_b32 v11, v35 offset:1184                          // 000000006094: D81A04A0 0000230B
	buffer_load_dword v9, s[24:27], 0 idxen lds                // 00000000609C: E0512000 80060009
	s_mov_b32 m0, s80                                          // 0000000060A4: BEFC0050
	v_add_u32_e32 v9, s69, v9                                  // 0000000060A8: 68121245
	v_perm_b32 v88, v41, v40, s63                              // 0000000060AC: D1ED0058 00FE5129
	v_perm_b32 v89, v41, v40, s64                              // 0000000060B4: D1ED0059 01025129
	v_perm_b32 v90, v43, v42, s63                              // 0000000060BC: D1ED005A 00FE552B
	v_perm_b32 v91, v43, v42, s64                              // 0000000060C4: D1ED005B 0102552B
	ds_write_b32 v13, v88 offset:13056                         // 0000000060CC: D81A3300 0000580D
	ds_write_b32 v13, v89 offset:14112                         // 0000000060D4: D81A3720 0000590D
	ds_write_b32 v13, v90 offset:13184                         // 0000000060DC: D81A3380 00005A0D
	ds_write_b32 v13, v91 offset:14240                         // 0000000060E4: D81A37A0 00005B0D
	ds_write_b32 v11, v40 offset:8704                          // 0000000060EC: D81A2200 0000280B
	ds_write_b32 v11, v41 offset:9760                          // 0000000060F4: D81A2620 0000290B
	ds_write_b32 v11, v42 offset:8832                          // 0000000060FC: D81A2280 00002A0B
	ds_write_b32 v11, v43 offset:9888                          // 000000006104: D81A26A0 00002B0B
	s_waitcnt vmcnt(1) lgkmcnt(0)                              // 00000000610C: BF8C0071
	s_barrier                                                  // 000000006110: BF8A0000
	ds_read_b128 a[144:147], v10                               // 000000006114: DBFE0000 9000000A
	ds_read_b128 a[148:151], v10 offset:512                    // 00000000611C: DBFE0200 9400000A
	ds_read_b128 a[152:155], v10 offset:2176                   // 000000006124: DBFE0880 9800000A
	ds_read_b128 a[156:159], v10 offset:2688                   // 00000000612C: DBFE0A80 9C00000A
	ds_read_b128 v[92:95], v10 offset:8704                     // 000000006134: D9FE2200 5C00000A
	ds_read_b128 v[96:99], v10 offset:9216                     // 00000000613C: D9FE2400 6000000A
	ds_read_b128 v[100:103], v10 offset:10880                  // 000000006144: D9FE2A80 6400000A
	ds_read_b128 v[104:107], v10 offset:11392                  // 00000000614C: D9FE2C80 6800000A
	ds_read_b32 v124, v21 offset:50688                         // 000000006154: D86CC600 7C000015
	ds_read_b32 v150, v21 offset:50944                         // 00000000615C: D86CC700 96000015
	v_accvgpr_write_b32 a160, 0                                // 000000006164: D3D940A0 18000080
	v_mov_b32_e32 v152, 0                                      // 00000000616C: 7F300280
	v_accvgpr_write_b32 a161, 0                                // 000000006170: D3D940A1 18000080
	v_mov_b32_e32 v153, 0                                      // 000000006178: 7F320280
	v_accvgpr_write_b32 a162, 0                                // 00000000617C: D3D940A2 18000080
	v_mov_b32_e32 v154, 0                                      // 000000006184: 7F340280
	v_accvgpr_write_b32 a163, 0                                // 000000006188: D3D940A3 18000080
	v_mov_b32_e32 v155, 0                                      // 000000006190: 7F360280
	v_accvgpr_write_b32 a164, 0                                // 000000006194: D3D940A4 18000080
	v_mov_b32_e32 v156, 0                                      // 00000000619C: 7F380280
	v_accvgpr_write_b32 a165, 0                                // 0000000061A0: D3D940A5 18000080
	v_mov_b32_e32 v157, 0                                      // 0000000061A8: 7F3A0280
	v_accvgpr_write_b32 a166, 0                                // 0000000061AC: D3D940A6 18000080
	v_mov_b32_e32 v158, 0                                      // 0000000061B4: 7F3C0280
	v_accvgpr_write_b32 a167, 0                                // 0000000061B8: D3D940A7 18000080
	v_mov_b32_e32 v159, 0                                      // 0000000061C0: 7F3E0280
	v_accvgpr_write_b32 a168, 0                                // 0000000061C4: D3D940A8 18000080
	v_mov_b32_e32 v160, 0                                      // 0000000061CC: 7F400280
	v_accvgpr_write_b32 a169, 0                                // 0000000061D0: D3D940A9 18000080
	v_mov_b32_e32 v161, 0                                      // 0000000061D8: 7F420280
	v_accvgpr_write_b32 a170, 0                                // 0000000061DC: D3D940AA 18000080
	v_mov_b32_e32 v162, 0                                      // 0000000061E4: 7F440280
	v_accvgpr_write_b32 a171, 0                                // 0000000061E8: D3D940AB 18000080
	v_mov_b32_e32 v163, 0                                      // 0000000061F0: 7F460280
	v_accvgpr_write_b32 a172, 0                                // 0000000061F4: D3D940AC 18000080
	v_mov_b32_e32 v164, 0                                      // 0000000061FC: 7F480280
	v_accvgpr_write_b32 a173, 0                                // 000000006200: D3D940AD 18000080
	v_mov_b32_e32 v165, 0                                      // 000000006208: 7F4A0280
	v_accvgpr_write_b32 a174, 0                                // 00000000620C: D3D940AE 18000080
	v_mov_b32_e32 v166, 0                                      // 000000006214: 7F4C0280
	v_accvgpr_write_b32 a175, 0                                // 000000006218: D3D940AF 18000080
	v_mov_b32_e32 v167, 0                                      // 000000006220: 7F4E0280
	v_accvgpr_write_b32 a176, 0                                // 000000006224: D3D940B0 18000080
	v_mov_b32_e32 v168, 0                                      // 00000000622C: 7F500280
	v_accvgpr_write_b32 a177, 0                                // 000000006230: D3D940B1 18000080
	v_mov_b32_e32 v169, 0                                      // 000000006238: 7F520280
	v_accvgpr_write_b32 a178, 0                                // 00000000623C: D3D940B2 18000080
	v_mov_b32_e32 v170, 0                                      // 000000006244: 7F540280
	v_accvgpr_write_b32 a179, 0                                // 000000006248: D3D940B3 18000080
	v_mov_b32_e32 v171, 0                                      // 000000006250: 7F560280
	v_accvgpr_write_b32 a180, 0                                // 000000006254: D3D940B4 18000080
	v_mov_b32_e32 v172, 0                                      // 00000000625C: 7F580280
	v_accvgpr_write_b32 a181, 0                                // 000000006260: D3D940B5 18000080
	v_mov_b32_e32 v173, 0                                      // 000000006268: 7F5A0280
	v_accvgpr_write_b32 a182, 0                                // 00000000626C: D3D940B6 18000080
	v_mov_b32_e32 v174, 0                                      // 000000006274: 7F5C0280
	v_accvgpr_write_b32 a183, 0                                // 000000006278: D3D940B7 18000080
	v_mov_b32_e32 v175, 0                                      // 000000006280: 7F5E0280
	v_accvgpr_write_b32 a184, 0                                // 000000006284: D3D940B8 18000080
	v_mov_b32_e32 v176, 0                                      // 00000000628C: 7F600280
	v_accvgpr_write_b32 a185, 0                                // 000000006290: D3D940B9 18000080
	v_mov_b32_e32 v177, 0                                      // 000000006298: 7F620280
	v_accvgpr_write_b32 a186, 0                                // 00000000629C: D3D940BA 18000080
	v_mov_b32_e32 v178, 0                                      // 0000000062A4: 7F640280
	v_accvgpr_write_b32 a187, 0                                // 0000000062A8: D3D940BB 18000080
	v_mov_b32_e32 v179, 0                                      // 0000000062B0: 7F660280
	v_accvgpr_write_b32 a188, 0                                // 0000000062B4: D3D940BC 18000080
	v_mov_b32_e32 v180, 0                                      // 0000000062BC: 7F680280
	v_accvgpr_write_b32 a189, 0                                // 0000000062C0: D3D940BD 18000080
	v_mov_b32_e32 v181, 0                                      // 0000000062C8: 7F6A0280
	v_accvgpr_write_b32 a190, 0                                // 0000000062CC: D3D940BE 18000080
	v_mov_b32_e32 v182, 0                                      // 0000000062D4: 7F6C0280
	v_accvgpr_write_b32 a191, 0                                // 0000000062D8: D3D940BF 18000080
	v_mov_b32_e32 v183, 0                                      // 0000000062E0: 7F6E0280
	v_accvgpr_write_b32 a192, 0                                // 0000000062E4: D3D940C0 18000080
	v_mov_b32_e32 v184, 0                                      // 0000000062EC: 7F700280
	v_accvgpr_write_b32 a193, 0                                // 0000000062F0: D3D940C1 18000080
	v_mov_b32_e32 v185, 0                                      // 0000000062F8: 7F720280
	v_accvgpr_write_b32 a194, 0                                // 0000000062FC: D3D940C2 18000080
	v_mov_b32_e32 v186, 0                                      // 000000006304: 7F740280
	v_accvgpr_write_b32 a195, 0                                // 000000006308: D3D940C3 18000080
	v_mov_b32_e32 v187, 0                                      // 000000006310: 7F760280
	v_accvgpr_write_b32 a196, 0                                // 000000006314: D3D940C4 18000080
	v_mov_b32_e32 v188, 0                                      // 00000000631C: 7F780280
	v_accvgpr_write_b32 a197, 0                                // 000000006320: D3D940C5 18000080
	v_mov_b32_e32 v189, 0                                      // 000000006328: 7F7A0280
	v_accvgpr_write_b32 a198, 0                                // 00000000632C: D3D940C6 18000080
	v_mov_b32_e32 v190, 0                                      // 000000006334: 7F7C0280
	v_accvgpr_write_b32 a199, 0                                // 000000006338: D3D940C7 18000080
	v_mov_b32_e32 v191, 0                                      // 000000006340: 7F7E0280
	v_accvgpr_write_b32 a200, 0                                // 000000006344: D3D940C8 18000080
	v_mov_b32_e32 v192, 0                                      // 00000000634C: 7F800280
	v_accvgpr_write_b32 a201, 0                                // 000000006350: D3D940C9 18000080
	v_mov_b32_e32 v193, 0                                      // 000000006358: 7F820280
	v_accvgpr_write_b32 a202, 0                                // 00000000635C: D3D940CA 18000080
	v_mov_b32_e32 v194, 0                                      // 000000006364: 7F840280
	v_accvgpr_write_b32 a203, 0                                // 000000006368: D3D940CB 18000080
	v_mov_b32_e32 v195, 0                                      // 000000006370: 7F860280
	v_accvgpr_write_b32 a204, 0                                // 000000006374: D3D940CC 18000080
	v_mov_b32_e32 v196, 0                                      // 00000000637C: 7F880280
	v_accvgpr_write_b32 a205, 0                                // 000000006380: D3D940CD 18000080
	v_mov_b32_e32 v197, 0                                      // 000000006388: 7F8A0280
	v_accvgpr_write_b32 a206, 0                                // 00000000638C: D3D940CE 18000080
	v_mov_b32_e32 v198, 0                                      // 000000006394: 7F8C0280
	v_accvgpr_write_b32 a207, 0                                // 000000006398: D3D940CF 18000080
	v_mov_b32_e32 v199, 0                                      // 0000000063A0: 7F8E0280
	v_accvgpr_write_b32 a208, 0                                // 0000000063A4: D3D940D0 18000080
	v_mov_b32_e32 v200, 0                                      // 0000000063AC: 7F900280
	v_accvgpr_write_b32 a209, 0                                // 0000000063B0: D3D940D1 18000080
	v_mov_b32_e32 v201, 0                                      // 0000000063B8: 7F920280
	v_accvgpr_write_b32 a210, 0                                // 0000000063BC: D3D940D2 18000080
	v_mov_b32_e32 v202, 0                                      // 0000000063C4: 7F940280
	v_accvgpr_write_b32 a211, 0                                // 0000000063C8: D3D940D3 18000080
	v_mov_b32_e32 v203, 0                                      // 0000000063D0: 7F960280
	v_accvgpr_write_b32 a212, 0                                // 0000000063D4: D3D940D4 18000080
	v_mov_b32_e32 v204, 0                                      // 0000000063DC: 7F980280
	v_accvgpr_write_b32 a213, 0                                // 0000000063E0: D3D940D5 18000080
	v_mov_b32_e32 v205, 0                                      // 0000000063E8: 7F9A0280
	v_accvgpr_write_b32 a214, 0                                // 0000000063EC: D3D940D6 18000080
	v_mov_b32_e32 v206, 0                                      // 0000000063F4: 7F9C0280
	v_accvgpr_write_b32 a215, 0                                // 0000000063F8: D3D940D7 18000080
	v_mov_b32_e32 v207, 0                                      // 000000006400: 7F9E0280
	v_accvgpr_write_b32 a216, 0                                // 000000006404: D3D940D8 18000080
	v_mov_b32_e32 v208, 0                                      // 00000000640C: 7FA00280
	v_accvgpr_write_b32 a217, 0                                // 000000006410: D3D940D9 18000080
	v_mov_b32_e32 v209, 0                                      // 000000006418: 7FA20280
	v_accvgpr_write_b32 a218, 0                                // 00000000641C: D3D940DA 18000080
	v_mov_b32_e32 v210, 0                                      // 000000006424: 7FA40280
	v_accvgpr_write_b32 a219, 0                                // 000000006428: D3D940DB 18000080
	v_mov_b32_e32 v211, 0                                      // 000000006430: 7FA60280
	v_accvgpr_write_b32 a220, 0                                // 000000006434: D3D940DC 18000080
	v_mov_b32_e32 v212, 0                                      // 00000000643C: 7FA80280
	v_accvgpr_write_b32 a221, 0                                // 000000006440: D3D940DD 18000080
	v_mov_b32_e32 v213, 0                                      // 000000006448: 7FAA0280
	v_accvgpr_write_b32 a222, 0                                // 00000000644C: D3D940DE 18000080
	v_mov_b32_e32 v214, 0                                      // 000000006454: 7FAC0280
	v_accvgpr_write_b32 a223, 0                                // 000000006458: D3D940DF 18000080
	v_mov_b32_e32 v215, 0                                      // 000000006460: 7FAE0280
	v_accvgpr_write_b32 a224, 0                                // 000000006464: D3D940E0 18000080
	v_mov_b32_e32 v216, 0                                      // 00000000646C: 7FB00280
	v_accvgpr_write_b32 a225, 0                                // 000000006470: D3D940E1 18000080
	v_mov_b32_e32 v217, 0                                      // 000000006478: 7FB20280
	v_accvgpr_write_b32 a226, 0                                // 00000000647C: D3D940E2 18000080
	v_mov_b32_e32 v218, 0                                      // 000000006484: 7FB40280
	v_accvgpr_write_b32 a227, 0                                // 000000006488: D3D940E3 18000080
	v_mov_b32_e32 v219, 0                                      // 000000006490: 7FB60280
	v_accvgpr_write_b32 a228, 0                                // 000000006494: D3D940E4 18000080
	v_mov_b32_e32 v220, 0                                      // 00000000649C: 7FB80280
	v_accvgpr_write_b32 a229, 0                                // 0000000064A0: D3D940E5 18000080
	v_mov_b32_e32 v221, 0                                      // 0000000064A8: 7FBA0280
	v_accvgpr_write_b32 a230, 0                                // 0000000064AC: D3D940E6 18000080
	v_mov_b32_e32 v222, 0                                      // 0000000064B4: 7FBC0280
	v_accvgpr_write_b32 a231, 0                                // 0000000064B8: D3D940E7 18000080
	v_mov_b32_e32 v223, 0                                      // 0000000064C0: 7FBE0280
	v_accvgpr_write_b32 a232, 0                                // 0000000064C4: D3D940E8 18000080
	v_mov_b32_e32 v224, 0                                      // 0000000064CC: 7FC00280
	v_accvgpr_write_b32 a233, 0                                // 0000000064D0: D3D940E9 18000080
	v_mov_b32_e32 v225, 0                                      // 0000000064D8: 7FC20280
	v_accvgpr_write_b32 a234, 0                                // 0000000064DC: D3D940EA 18000080
	v_mov_b32_e32 v226, 0                                      // 0000000064E4: 7FC40280
	v_accvgpr_write_b32 a235, 0                                // 0000000064E8: D3D940EB 18000080
	v_mov_b32_e32 v227, 0                                      // 0000000064F0: 7FC60280
	v_accvgpr_write_b32 a236, 0                                // 0000000064F4: D3D940EC 18000080
	v_mov_b32_e32 v228, 0                                      // 0000000064FC: 7FC80280
	v_accvgpr_write_b32 a237, 0                                // 000000006500: D3D940ED 18000080
	v_mov_b32_e32 v229, 0                                      // 000000006508: 7FCA0280
	v_accvgpr_write_b32 a238, 0                                // 00000000650C: D3D940EE 18000080
	v_mov_b32_e32 v230, 0                                      // 000000006514: 7FCC0280
	v_accvgpr_write_b32 a239, 0                                // 000000006518: D3D940EF 18000080
	v_mov_b32_e32 v231, 0                                      // 000000006520: 7FCE0280
	v_accvgpr_write_b32 a240, 0                                // 000000006524: D3D940F0 18000080
	v_mov_b32_e32 v232, 0                                      // 00000000652C: 7FD00280
	v_accvgpr_write_b32 a241, 0                                // 000000006530: D3D940F1 18000080
	v_mov_b32_e32 v233, 0                                      // 000000006538: 7FD20280
	v_accvgpr_write_b32 a242, 0                                // 00000000653C: D3D940F2 18000080
	v_mov_b32_e32 v234, 0                                      // 000000006544: 7FD40280
	v_accvgpr_write_b32 a243, 0                                // 000000006548: D3D940F3 18000080
	v_mov_b32_e32 v235, 0                                      // 000000006550: 7FD60280
	v_accvgpr_write_b32 a244, 0                                // 000000006554: D3D940F4 18000080
	v_mov_b32_e32 v236, 0                                      // 00000000655C: 7FD80280
	v_accvgpr_write_b32 a245, 0                                // 000000006560: D3D940F5 18000080
	v_mov_b32_e32 v237, 0                                      // 000000006568: 7FDA0280
	v_accvgpr_write_b32 a246, 0                                // 00000000656C: D3D940F6 18000080
	v_mov_b32_e32 v238, 0                                      // 000000006574: 7FDC0280
	v_accvgpr_write_b32 a247, 0                                // 000000006578: D3D940F7 18000080
	v_mov_b32_e32 v239, 0                                      // 000000006580: 7FDE0280
	v_accvgpr_write_b32 a248, 0                                // 000000006584: D3D940F8 18000080
	v_mov_b32_e32 v240, 0                                      // 00000000658C: 7FE00280
	v_accvgpr_write_b32 a249, 0                                // 000000006590: D3D940F9 18000080
	v_mov_b32_e32 v241, 0                                      // 000000006598: 7FE20280
	v_accvgpr_write_b32 a250, 0                                // 00000000659C: D3D940FA 18000080
	v_mov_b32_e32 v242, 0                                      // 0000000065A4: 7FE40280
	v_accvgpr_write_b32 a251, 0                                // 0000000065A8: D3D940FB 18000080
	v_mov_b32_e32 v243, 0                                      // 0000000065B0: 7FE60280
	v_accvgpr_write_b32 a252, 0                                // 0000000065B4: D3D940FC 18000080
	v_mov_b32_e32 v244, 0                                      // 0000000065BC: 7FE80280
	v_accvgpr_write_b32 a253, 0                                // 0000000065C0: D3D940FD 18000080
	v_mov_b32_e32 v245, 0                                      // 0000000065C8: 7FEA0280
	v_accvgpr_write_b32 a254, 0                                // 0000000065CC: D3D940FE 18000080
	v_mov_b32_e32 v246, 0                                      // 0000000065D4: 7FEC0280
	v_accvgpr_write_b32 a255, 0                                // 0000000065D8: D3D940FF 18000080
	v_mov_b32_e32 v247, 0                                      // 0000000065E0: 7FEE0280
	v_mov_b32_e32 v136, 0                                      // 0000000065E4: 7F100280
	v_mov_b32_e32 v137, 0                                      // 0000000065E8: 7F120280
	v_mov_b32_e32 v138, 0                                      // 0000000065EC: 7F140280
	v_mov_b32_e32 v139, 0                                      // 0000000065F0: 7F160280
	v_mov_b32_e32 v140, 0                                      // 0000000065F4: 7F180280
	v_mov_b32_e32 v141, 0                                      // 0000000065F8: 7F1A0280
	v_mov_b32_e32 v142, 0                                      // 0000000065FC: 7F1C0280
	v_mov_b32_e32 v143, 0                                      // 000000006600: 7F1E0280
	v_mov_b32_e32 v128, 0                                      // 000000006604: 7F000280
	v_mov_b32_e32 v129, 0                                      // 000000006608: 7F020280
	v_mov_b32_e32 v130, 0                                      // 00000000660C: 7F040280
	v_mov_b32_e32 v131, 0                                      // 000000006610: 7F060280
	v_mov_b32_e32 v132, 0                                      // 000000006614: 7F080280
	v_mov_b32_e32 v133, 0                                      // 000000006618: 7F0A0280
	v_mov_b32_e32 v134, 0                                      // 00000000661C: 7F0C0280
	v_mov_b32_e32 v135, 0                                      // 000000006620: 7F0E0280
	s_waitcnt lgkmcnt(0)                                       // 000000006624: BF8CC07F
	s_barrier                                                  // 000000006628: BF8A0000
	v_mov_b32_e32 v32, 0                                       // 00000000662C: 7E400280
	s_mov_b64 exec, s[90:91]                                   // 000000006630: BEFE015A
	buffer_load_dword v32, v1, s[8:11], 0 idxen                // 000000006634: E0502000 80022001
	s_mov_b32 exec_lo, -1                                      // 00000000663C: BEFE00C1
	s_mov_b32 exec_hi, -1                                      // 000000006640: BEFF00C1
	v_mov_b32_e32 v33, 0                                       // 000000006644: 7E420280
	s_mov_b64 exec, s[90:91]                                   // 000000006648: BEFE015A
	buffer_load_dword v33, v2, s[8:11], 0 idxen                // 00000000664C: E0502000 80022102
	s_mov_b32 exec_lo, -1                                      // 000000006654: BEFE00C1
	s_mov_b32 exec_hi, -1                                      // 000000006658: BEFF00C1
	v_mov_b32_e32 v34, 0                                       // 00000000665C: 7E440280
	s_mov_b64 exec, s[90:91]                                   // 000000006660: BEFE015A
	buffer_load_dword v34, v3, s[8:11], 0 idxen                // 000000006664: E0502000 80022203
	s_mov_b32 exec_lo, -1                                      // 00000000666C: BEFE00C1
	s_mov_b32 exec_hi, -1                                      // 000000006670: BEFF00C1
	v_mov_b32_e32 v35, 0                                       // 000000006674: 7E460280
	s_mov_b64 exec, s[90:91]                                   // 000000006678: BEFE015A
	buffer_load_dword v35, v4, s[8:11], 0 idxen                // 00000000667C: E0502000 80022304
	s_mov_b32 exec_lo, -1                                      // 000000006684: BEFE00C1
	s_mov_b32 exec_hi, -1                                      // 000000006688: BEFF00C1
	v_mov_b32_e32 v40, 0                                       // 00000000668C: 7E500280
	s_mov_b64 exec, s[90:91]                                   // 000000006690: BEFE015A
	buffer_load_dword v40, v252, s[20:23], 0 idxen             // 000000006694: E0502000 800528FC
	s_mov_b32 exec_lo, -1                                      // 00000000669C: BEFE00C1
	s_mov_b32 exec_hi, -1                                      // 0000000066A0: BEFF00C1
	v_mov_b32_e32 v41, 0                                       // 0000000066A4: 7E520280
	s_mov_b64 exec, s[90:91]                                   // 0000000066A8: BEFE015A
	buffer_load_dword v41, v253, s[20:23], 0 idxen             // 0000000066AC: E0502000 800529FD
	s_mov_b32 exec_lo, -1                                      // 0000000066B4: BEFE00C1
	s_mov_b32 exec_hi, -1                                      // 0000000066B8: BEFF00C1
	v_mov_b32_e32 v42, 0                                       // 0000000066BC: 7E540280
	s_mov_b64 exec, s[90:91]                                   // 0000000066C0: BEFE015A
	buffer_load_dword v42, v254, s[20:23], 0 idxen             // 0000000066C4: E0502000 80052AFE
	s_mov_b32 exec_lo, -1                                      // 0000000066CC: BEFE00C1
	s_mov_b32 exec_hi, -1                                      // 0000000066D0: BEFF00C1
	v_mov_b32_e32 v43, 0                                       // 0000000066D4: 7E560280
	s_mov_b64 exec, s[90:91]                                   // 0000000066D8: BEFE015A
	buffer_load_dword v43, v255, s[20:23], 0 idxen             // 0000000066DC: E0502000 80052BFF
	s_mov_b32 exec_lo, -1                                      // 0000000066E4: BEFE00C1
	s_mov_b32 exec_hi, -1                                      // 0000000066E8: BEFF00C1
	buffer_load_dword v9, s[24:27], 0 idxen lds                // 0000000066EC: E0512000 80060009
	s_mov_b32 m0, s81                                          // 0000000066F4: BEFC0051
	v_add_u32_e32 v9, s69, v9                                  // 0000000066F8: 68121245
	v_add_u32_e32 v1, s68, v1                                  // 0000000066FC: 68020244
	v_add_u32_e32 v2, s68, v2                                  // 000000006700: 68040444
	v_add_u32_e32 v3, s68, v3                                  // 000000006704: 68060644
	;; [unrolled: 1-line block ×3, first 2 shown]
	v_add_u32_e32 v252, s99, v252                              // 00000000670C: 69F9F863
	v_add_u32_e32 v253, s99, v253                              // 000000006710: 69FBFA63
	v_add_u32_e32 v254, s99, v254                              // 000000006714: 69FDFC63
	v_add_u32_e32 v255, s99, v255                              // 000000006718: 69FFFE63
	v_mul_f32_e32 v124, s48, v124                              // 00000000671C: 0AF8F830
	v_perm_b32 v84, v37, v36, s63                              // 000000006720: D1ED0054 00FE4925
	v_perm_b32 v85, v37, v36, s64                              // 000000006728: D1ED0055 01024925
	v_perm_b32 v86, v39, v38, s63                              // 000000006730: D1ED0056 00FE4D27
	v_perm_b32 v87, v39, v38, s64                              // 000000006738: D1ED0057 01024D27
	v_perm_b32 v88, v45, v44, s63                              // 000000006740: D1ED0058 00FE592D
	v_perm_b32 v89, v45, v44, s64                              // 000000006748: D1ED0059 0102592D
	v_perm_b32 v90, v47, v46, s63                              // 000000006750: D1ED005A 00FE5D2F
	v_perm_b32 v91, v47, v46, s64                              // 000000006758: D1ED005B 01025D2F
	v_mov_b32_dpp v127, v124 quad_perm:[3,3,3,3] row_mask:0xf bank_mask:0xf// 000000006760: 7EFE02FA FF00FF7C
	v_mov_b32_dpp v126, v124 quad_perm:[2,2,2,2] row_mask:0xf bank_mask:0xf// 000000006768: 7EFC02FA FF00AA7C
	v_mov_b32_dpp v125, v124 quad_perm:[1,1,1,1] row_mask:0xf bank_mask:0xf// 000000006770: 7EFA02FA FF00557C
	v_mov_b32_dpp v124, v124 quad_perm:[0,0,0,0] row_mask:0xf bank_mask:0xf// 000000006778: 7EF802FA FF00007C
	s_waitcnt vmcnt(9)                                         // 000000006780: BF8C0F79
	s_barrier                                                  // 000000006784: BF8A0000
	s_cmp_lt_i32 s46, 2                                        // 000000006788: BF04822E
	s_cbranch_scc0 label_1256                                  // 00000000678C: BF8407E8
	s_nop 0                                                    // 000000006790: BF800000
	s_nop 0                                                    // 000000006794: BF800000

0000000000006798 <label_0A66>:
	s_waitcnt lgkmcnt(0)                                       // 000000006798: BF8CC07F
	s_barrier                                                  // 00000000679C: BF8A0000
	v_mfma_f32_16x16x16_bf16 v[48:51], a[144:145], a[0:1], 0   // 0000000067A0: D3E10030 1A020190
	ds_write_b32 v11, v44 offset:8704                          // 0000000067A8: D81A2200 00002C0B
	ds_write_b32 v11, v45 offset:9760                          // 0000000067B0: D81A2620 00002D0B
	v_mfma_f32_16x16x16_bf16 v[48:51], a[146:147], a[2:3], v[48:51]// 0000000067B8: D3E10030 1CC20592
	v_mul_f32_e32 v128, s47, v128                              // 0000000067C0: 0B01002F
	v_mul_f32_e32 v129, s47, v129                              // 0000000067C4: 0B03022F
	v_mfma_f32_16x16x16_bf16 v[48:51], a[148:149], a[4:5], v[48:51]// 0000000067C8: D3E10030 1CC20994
	ds_write_b32 v11, v46 offset:8832                          // 0000000067D0: D81A2280 00002E0B
	ds_write_b32 v11, v47 offset:9888                          // 0000000067D8: D81A26A0 00002F0B
	v_mfma_f32_16x16x16_bf16 v[48:51], a[150:151], a[6:7], v[48:51]// 0000000067E0: D3E10030 1CC20D96
	v_mul_f32_e32 v130, s47, v130                              // 0000000067E8: 0B05042F
	v_mul_f32_e32 v131, s47, v131                              // 0000000067EC: 0B07062F
	v_mfma_f32_16x16x16_bf16 v[48:51], a[152:153], a[8:9], v[48:51]// 0000000067F0: D3E10030 1CC21198
	ds_write_b64 v20, v[128:129] offset:24320                  // 0000000067F8: D89A5F00 00008014
	v_mfma_f32_16x16x16_bf16 v[48:51], a[154:155], a[10:11], v[48:51]// 000000006800: D3E10030 1CC2159A
	v_mul_f32_e32 v132, s47, v132                              // 000000006808: 0B09082F
	v_mul_f32_e32 v133, s47, v133                              // 00000000680C: 0B0B0A2F
	v_mfma_f32_16x16x16_bf16 v[48:51], a[156:157], a[12:13], v[48:51]// 000000006810: D3E10030 1CC2199C
	ds_write_b64 v20, v[130:131] offset:24832                  // 000000006818: D89A6100 00008214
	v_mfma_f32_16x16x16_bf16 v[48:51], a[158:159], a[14:15], v[48:51]// 000000006820: D3E10030 1CC21D9E
	v_mul_f32_e32 v134, s47, v134                              // 000000006828: 0B0D0C2F
	v_mul_f32_e32 v135, s47, v135                              // 00000000682C: 0B0F0E2F
	v_mfma_f32_16x16x16_bf16 v[52:55], a[144:145], a[16:17], 0 // 000000006830: D3E10034 1A022190
	ds_write_b64 v20, v[132:133] offset:25344                  // 000000006838: D89A6300 00008414
	v_mfma_f32_16x16x16_bf16 v[52:55], a[146:147], a[18:19], v[52:55]// 000000006840: D3E10034 1CD22592
	buffer_atomic_add_f32 v140, v7, s[32:35], 0 offen offset:256// 000000006848: E1341100 80088C07
	v_mfma_f32_16x16x16_bf16 v[52:55], a[148:149], a[20:21], v[52:55]// 000000006850: D3E10034 1CD22994
	ds_write_b64 v20, v[134:135] offset:25856                  // 000000006858: D89A6500 00008614
	v_mfma_f32_16x16x16_bf16 v[52:55], a[150:151], a[22:23], v[52:55]// 000000006860: D3E10034 1CD22D96
	v_mfma_f32_16x16x16_bf16 v[52:55], a[152:153], a[24:25], v[52:55]// 000000006868: D3E10034 1CD23198
	ds_read_b128 v[108:111], v12 offset:13056                  // 000000006870: D9FE3300 6C00000C
	ds_write_b32 v11, v36                                      // 000000006878: D81A0000 0000240B
	v_mfma_f32_16x16x16_bf16 v[52:55], a[154:155], a[26:27], v[52:55]// 000000006880: D3E10034 1CD2359A
	buffer_atomic_add_f32 v141, v8, s[32:35], 0 offen offset:256// 000000006888: E1341100 80088D08
	v_mfma_f32_16x16x16_bf16 v[52:55], a[156:157], a[28:29], v[52:55]// 000000006890: D3E10034 1CD2399C
	v_mfma_f32_16x16x16_bf16 v[52:55], a[158:159], a[30:31], v[52:55]// 000000006898: D3E10034 1CD23D9E
	ds_read_b128 v[112:115], v12 offset:13568                  // 0000000068A0: D9FE3500 7000000C
	ds_write_b32 v11, v37 offset:1056                          // 0000000068A8: D81A0420 0000250B
	v_mfma_f32_16x16x16_bf16 v[56:59], a[144:145], a[32:33], 0 // 0000000068B0: D3E10038 1A024190
	buffer_atomic_add_f32 v142, v7, s[32:35], 0 offen offset:384// 0000000068B8: E1341180 80088E07
	v_mfma_f32_16x16x16_bf16 v[56:59], a[146:147], a[34:35], v[56:59]// 0000000068C0: D3E10038 1CE24592
	v_mfma_f32_16x16x16_bf16 v[56:59], a[148:149], a[36:37], v[56:59]// 0000000068C8: D3E10038 1CE24994
	ds_read_b128 v[116:119], v12 offset:15232                  // 0000000068D0: D9FE3B80 7400000C
	ds_write_b32 v11, v38 offset:128                           // 0000000068D8: D81A0080 0000260B
	v_mfma_f32_16x16x16_bf16 v[56:59], a[150:151], a[38:39], v[56:59]// 0000000068E0: D3E10038 1CE24D96
	v_mfma_f32_16x16x16_bf16 v[56:59], a[152:153], a[40:41], v[56:59]// 0000000068E8: D3E10038 1CE25198
	buffer_atomic_add_f32 v143, v8, s[32:35], 0 offen offset:384// 0000000068F0: E1341180 80088F08
	v_mfma_f32_16x16x16_bf16 v[56:59], a[154:155], a[42:43], v[56:59]// 0000000068F8: D3E10038 1CE2559A
	ds_read_b128 v[120:123], v12 offset:15744                  // 000000006900: D9FE3D80 7800000C
	ds_write_b32 v11, v39 offset:1184                          // 000000006908: D81A04A0 0000270B
	v_mfma_f32_16x16x16_bf16 v[56:59], a[156:157], a[44:45], v[56:59]// 000000006910: D3E10038 1CE2599C
	v_mfma_f32_16x16x16_bf16 v[56:59], a[158:159], a[46:47], v[56:59]// 000000006918: D3E10038 1CE25D9E
	s_cmp_lt_i32 s74, 12                                       // 000000006920: BF048C4A
	s_cbranch_scc0 label_0B3F                                  // 000000006924: BF840075
	s_mov_b32 s60, 0xffe0fffe                                  // 000000006928: BEBC00FF FFE0FFFE
	s_mov_b32 s61, 0xe000fe00                                  // 000000006930: BEBD00FF E000FE00
	s_nop 0                                                    // 000000006938: BF800000
	s_add_u32 s62, 0, s46                                      // 00000000693C: 803E2E80
	s_cmp_lt_i32 s74, s62                                      // 000000006940: BF043E4A
	s_cbranch_scc1 label_0AFA                                  // 000000006944: BF850028
	s_cmp_eq_i32 s74, s62                                      // 000000006948: BF003E4A
	s_cbranch_scc1 label_0ADF                                  // 00000000694C: BF85000B
	s_add_u32 s62, 4, s46                                      // 000000006950: 803E2E84
	s_cmp_lt_i32 s74, s62                                      // 000000006954: BF043E4A
	s_cbranch_scc1 label_0B1A                                  // 000000006958: BF850043
	s_cmp_eq_i32 s74, s62                                      // 00000000695C: BF003E4A
	s_cbranch_scc1 label_0AFF                                  // 000000006960: BF850026
	s_add_u32 s62, 8, s46                                      // 000000006964: 803E2E88
	s_cmp_lt_i32 s74, s62                                      // 000000006968: BF043E4A
	s_cbranch_scc1 label_0B3A                                  // 00000000696C: BF85005E
	s_cmp_eq_i32 s74, s62                                      // 000000006970: BF003E4A
	s_cbranch_scc1 label_0B1F                                  // 000000006974: BF850041
	s_branch label_0B3F                                        // 000000006978: BF820060

000000000000697c <label_0ADF>:
	v_cndmask_b32_e64 v48, v48, v151, s[60:61]                 // 00000000697C: D1000030 00F32F30
	s_lshl_b32 s60, s60, 1                                     // 000000006984: 8E3C813C
	s_lshl_b32 s61, s61, 1                                     // 000000006988: 8E3D813D
	s_and_b32 s60, 0xfffeffff, s60                             // 00000000698C: 863C3CFF FFFEFFFF
	s_and_b32 s61, 0xfffeffff, s61                             // 000000006994: 863D3DFF FFFEFFFF
	v_cndmask_b32_e64 v49, v49, v151, s[60:61]                 // 00000000699C: D1000031 00F32F31
	s_lshl_b32 s60, s60, 1                                     // 0000000069A4: 8E3C813C
	s_lshl_b32 s61, s61, 1                                     // 0000000069A8: 8E3D813D
	s_and_b32 s60, 0xfffeffff, s60                             // 0000000069AC: 863C3CFF FFFEFFFF
	s_and_b32 s61, 0xfffeffff, s61                             // 0000000069B4: 863D3DFF FFFEFFFF
	v_cndmask_b32_e64 v50, v50, v151, s[60:61]                 // 0000000069BC: D1000032 00F32F32
	s_lshl_b32 s60, s60, 1                                     // 0000000069C4: 8E3C813C
	s_lshl_b32 s61, s61, 1                                     // 0000000069C8: 8E3D813D
	s_and_b32 s60, 0xfffeffff, s60                             // 0000000069CC: 863C3CFF FFFEFFFF
	s_and_b32 s61, 0xfffeffff, s61                             // 0000000069D4: 863D3DFF FFFEFFFF
	v_cndmask_b32_e64 v51, v51, v151, s[60:61]                 // 0000000069DC: D1000033 00F32F33
	s_branch label_0B1A                                        // 0000000069E4: BF820020

00000000000069e8 <label_0AFA>:
	v_mov_b32_e32 v48, v151                                    // 0000000069E8: 7E600397
	v_mov_b32_e32 v49, v151                                    // 0000000069EC: 7E620397
	v_mov_b32_e32 v50, v151                                    // 0000000069F0: 7E640397
	v_mov_b32_e32 v51, v151                                    // 0000000069F4: 7E660397
	s_branch label_0B1A                                        // 0000000069F8: BF82001B

00000000000069fc <label_0AFF>:
	v_cndmask_b32_e64 v52, v52, v151, s[60:61]                 // 0000000069FC: D1000034 00F32F34
	s_lshl_b32 s60, s60, 1                                     // 000000006A04: 8E3C813C
	s_lshl_b32 s61, s61, 1                                     // 000000006A08: 8E3D813D
	s_and_b32 s60, 0xfffeffff, s60                             // 000000006A0C: 863C3CFF FFFEFFFF
	s_and_b32 s61, 0xfffeffff, s61                             // 000000006A14: 863D3DFF FFFEFFFF
	v_cndmask_b32_e64 v53, v53, v151, s[60:61]                 // 000000006A1C: D1000035 00F32F35
	s_lshl_b32 s60, s60, 1                                     // 000000006A24: 8E3C813C
	s_lshl_b32 s61, s61, 1                                     // 000000006A28: 8E3D813D
	s_and_b32 s60, 0xfffeffff, s60                             // 000000006A2C: 863C3CFF FFFEFFFF
	s_and_b32 s61, 0xfffeffff, s61                             // 000000006A34: 863D3DFF FFFEFFFF
	v_cndmask_b32_e64 v54, v54, v151, s[60:61]                 // 000000006A3C: D1000036 00F32F36
	s_lshl_b32 s60, s60, 1                                     // 000000006A44: 8E3C813C
	s_lshl_b32 s61, s61, 1                                     // 000000006A48: 8E3D813D
	s_and_b32 s60, 0xfffeffff, s60                             // 000000006A4C: 863C3CFF FFFEFFFF
	s_and_b32 s61, 0xfffeffff, s61                             // 000000006A54: 863D3DFF FFFEFFFF
	v_cndmask_b32_e64 v55, v55, v151, s[60:61]                 // 000000006A5C: D1000037 00F32F37
	s_branch label_0B3A                                        // 000000006A64: BF820020

0000000000006a68 <label_0B1A>:
	v_mov_b32_e32 v52, v151                                    // 000000006A68: 7E680397
	v_mov_b32_e32 v53, v151                                    // 000000006A6C: 7E6A0397
	v_mov_b32_e32 v54, v151                                    // 000000006A70: 7E6C0397
	v_mov_b32_e32 v55, v151                                    // 000000006A74: 7E6E0397
	s_branch label_0B3A                                        // 000000006A78: BF82001B

0000000000006a7c <label_0B1F>:
	v_cndmask_b32_e64 v56, v56, v151, s[60:61]                 // 000000006A7C: D1000038 00F32F38
	s_lshl_b32 s60, s60, 1                                     // 000000006A84: 8E3C813C
	s_lshl_b32 s61, s61, 1                                     // 000000006A88: 8E3D813D
	s_and_b32 s60, 0xfffeffff, s60                             // 000000006A8C: 863C3CFF FFFEFFFF
	s_and_b32 s61, 0xfffeffff, s61                             // 000000006A94: 863D3DFF FFFEFFFF
	v_cndmask_b32_e64 v57, v57, v151, s[60:61]                 // 000000006A9C: D1000039 00F32F39
	s_lshl_b32 s60, s60, 1                                     // 000000006AA4: 8E3C813C
	s_lshl_b32 s61, s61, 1                                     // 000000006AA8: 8E3D813D
	s_and_b32 s60, 0xfffeffff, s60                             // 000000006AAC: 863C3CFF FFFEFFFF
	s_and_b32 s61, 0xfffeffff, s61                             // 000000006AB4: 863D3DFF FFFEFFFF
	v_cndmask_b32_e64 v58, v58, v151, s[60:61]                 // 000000006ABC: D100003A 00F32F3A
	s_lshl_b32 s60, s60, 1                                     // 000000006AC4: 8E3C813C
	s_lshl_b32 s61, s61, 1                                     // 000000006AC8: 8E3D813D
	s_and_b32 s60, 0xfffeffff, s60                             // 000000006ACC: 863C3CFF FFFEFFFF
	s_and_b32 s61, 0xfffeffff, s61                             // 000000006AD4: 863D3DFF FFFEFFFF
	v_cndmask_b32_e64 v59, v59, v151, s[60:61]                 // 000000006ADC: D100003B 00F32F3B
	s_branch label_0B3F                                        // 000000006AE4: BF820005

0000000000006ae8 <label_0B3A>:
	v_mov_b32_e32 v56, v151                                    // 000000006AE8: 7E700397
	v_mov_b32_e32 v57, v151                                    // 000000006AEC: 7E720397
	v_mov_b32_e32 v58, v151                                    // 000000006AF0: 7E740397
	v_mov_b32_e32 v59, v151                                    // 000000006AF4: 7E760397
	s_branch label_0B3F                                        // 000000006AF8: BF820000

0000000000006afc <label_0B3F>:
	s_cmp_lt_i32 s100, 0xc0                                    // 000000006AFC: BF04FF64 000000C0
	s_cbranch_scc0 label_0B94                                  // 000000006B04: BF84004D
	s_cmp_le_i32 s100, 64                                      // 000000006B08: BF05C064
	s_cbranch_scc1 label_0B4B                                  // 000000006B0C: BF850007
	s_cmp_le_i32 s100, 0x80                                    // 000000006B10: BF05FF64 00000080
	s_cbranch_scc1 label_0B63                                  // 000000006B18: BF850017
	s_cmp_lt_i32 s100, 0xc0                                    // 000000006B1C: BF04FF64 000000C0
	s_cbranch_scc1 label_0B7B                                  // 000000006B24: BF85002C
	s_branch label_0B94                                        // 000000006B28: BF820044

0000000000006b2c <label_0B4B>:
	s_mov_b32 s60, 0                                           // 000000006B2C: BEBC0080
	v_and_b32_e32 v28, 15, v0                                  // 000000006B30: 2638008F
	v_add_u32_e64 v28, v28, s60                                // 000000006B34: D134001C 0000791C
	v_mul_i32_i24_e64 v29, s46, 16                             // 000000006B3C: D106001D 0001202E
	v_add_u32_e32 v28, v28, v29                                // 000000006B44: 68383B1C
	v_cmp_lt_u32_e64 s[60:61], v28, s100                       // 000000006B48: D0C9003C 0000C91C
	s_nop 1                                                    // 000000006B50: BF800001
	v_cndmask_b32_e64 v48, v151, v48, s[60:61]                 // 000000006B54: D1000030 00F26197
	v_cndmask_b32_e64 v49, v151, v49, s[60:61]                 // 000000006B5C: D1000031 00F26397
	v_cndmask_b32_e64 v50, v151, v50, s[60:61]                 // 000000006B64: D1000032 00F26597
	v_cndmask_b32_e64 v51, v151, v51, s[60:61]                 // 000000006B6C: D1000033 00F26797
	s_branch label_0B76                                        // 000000006B74: BF820013

0000000000006b78 <label_0B63>:
	s_mov_b32 s60, 64                                          // 000000006B78: BEBC00C0
	v_and_b32_e32 v28, 15, v0                                  // 000000006B7C: 2638008F
	v_add_u32_e64 v28, v28, s60                                // 000000006B80: D134001C 0000791C
	v_mul_i32_i24_e64 v29, s46, 16                             // 000000006B88: D106001D 0001202E
	v_add_u32_e32 v28, v28, v29                                // 000000006B90: 68383B1C
	v_cmp_lt_u32_e64 s[60:61], v28, s100                       // 000000006B94: D0C9003C 0000C91C
	s_nop 1                                                    // 000000006B9C: BF800001
	v_cndmask_b32_e64 v52, v151, v52, s[60:61]                 // 000000006BA0: D1000034 00F26997
	v_cndmask_b32_e64 v53, v151, v53, s[60:61]                 // 000000006BA8: D1000035 00F26B97
	v_cndmask_b32_e64 v54, v151, v54, s[60:61]                 // 000000006BB0: D1000036 00F26D97
	v_cndmask_b32_e64 v55, v151, v55, s[60:61]                 // 000000006BB8: D1000037 00F26F97
	s_branch label_0B8F                                        // 000000006BC0: BF820019

0000000000006bc4 <label_0B76>:
	v_mov_b32_e32 v52, v151                                    // 000000006BC4: 7E680397
	v_mov_b32_e32 v53, v151                                    // 000000006BC8: 7E6A0397
	v_mov_b32_e32 v54, v151                                    // 000000006BCC: 7E6C0397
	v_mov_b32_e32 v55, v151                                    // 000000006BD0: 7E6E0397
	s_branch label_0B8F                                        // 000000006BD4: BF820014

0000000000006bd8 <label_0B7B>:
	s_mov_b32 s60, 0x80                                        // 000000006BD8: BEBC00FF 00000080
	v_and_b32_e32 v28, 15, v0                                  // 000000006BE0: 2638008F
	v_add_u32_e64 v28, v28, s60                                // 000000006BE4: D134001C 0000791C
	v_mul_i32_i24_e64 v29, s46, 16                             // 000000006BEC: D106001D 0001202E
	v_add_u32_e32 v28, v28, v29                                // 000000006BF4: 68383B1C
	v_cmp_lt_u32_e64 s[60:61], v28, s100                       // 000000006BF8: D0C9003C 0000C91C
	s_nop 1                                                    // 000000006C00: BF800001
	v_cndmask_b32_e64 v56, v151, v56, s[60:61]                 // 000000006C04: D1000038 00F27197
	v_cndmask_b32_e64 v57, v151, v57, s[60:61]                 // 000000006C0C: D1000039 00F27397
	v_cndmask_b32_e64 v58, v151, v58, s[60:61]                 // 000000006C14: D100003A 00F27597
	v_cndmask_b32_e64 v59, v151, v59, s[60:61]                 // 000000006C1C: D100003B 00F27797
	s_branch label_0B94                                        // 000000006C24: BF820005

0000000000006c28 <label_0B8F>:
	v_mov_b32_e32 v56, v151                                    // 000000006C28: 7E700397
	v_mov_b32_e32 v57, v151                                    // 000000006C2C: 7E720397
	v_mov_b32_e32 v58, v151                                    // 000000006C30: 7E740397
	v_mov_b32_e32 v59, v151                                    // 000000006C34: 7E760397
	s_branch label_0B94                                        // 000000006C38: BF820000

0000000000006c3c <label_0B94>:
	s_addk_i32 s74, 0x1                                        // 000000006C3C: B74A0001
	s_waitcnt lgkmcnt(8)                                       // 000000006C40: BF8CC87F
	s_barrier                                                  // 000000006C44: BF8A0000
	v_mfma_f32_16x16x16_bf16 v[72:75], v[92:93], a[96:97], 0   // 000000006C48: D3E10048 1202C15C
	ds_read_b128 a[144:147], v12 offset:4352                   // 000000006C50: DBFE1100 9000000C
	ds_read_b128 a[148:151], v12 offset:4864                   // 000000006C58: DBFE1300 9400000C
	v_mfma_f32_16x16x16_bf16 v[72:75], v[94:95], a[98:99], v[72:75]// 000000006C60: D3E10048 1522C55E
	v_fma_f32 v48, v48, s57, -v124                             // 000000006C68: D1CB0030 85F07330
	v_fma_f32 v49, v49, s57, -v125                             // 000000006C70: D1CB0031 85F47331
	v_fma_f32 v50, v50, s57, -v126                             // 000000006C78: D1CB0032 85F87332
	v_mfma_f32_16x16x16_bf16 v[72:75], v[96:97], a[100:101], v[72:75]// 000000006C80: D3E10048 1522C960
	v_fma_f32 v51, v51, s57, -v127                             // 000000006C88: D1CB0033 85FC7333
	v_fma_f32 v52, v52, s57, -v124                             // 000000006C90: D1CB0034 85F07334
	v_fma_f32 v53, v53, s57, -v125                             // 000000006C98: D1CB0035 85F47335
	v_mfma_f32_16x16x16_bf16 v[72:75], v[98:99], a[102:103], v[72:75]// 000000006CA0: D3E10048 1522CD62
	v_fma_f32 v54, v54, s57, -v126                             // 000000006CA8: D1CB0036 85F87336
	v_fma_f32 v55, v55, s57, -v127                             // 000000006CB0: D1CB0037 85FC7337
	v_fma_f32 v56, v56, s57, -v124                             // 000000006CB8: D1CB0038 85F07338
	v_mfma_f32_16x16x16_bf16 v[72:75], v[100:101], a[104:105], v[72:75]// 000000006CC0: D3E10048 1522D164
	ds_read_b128 a[152:155], v12 offset:6528                   // 000000006CC8: DBFE1980 9800000C
	ds_read_b128 a[156:159], v12 offset:7040                   // 000000006CD0: DBFE1B80 9C00000C
	v_mfma_f32_16x16x16_bf16 v[72:75], v[102:103], a[106:107], v[72:75]// 000000006CD8: D3E10048 1522D566
	v_fma_f32 v57, v57, s57, -v125                             // 000000006CE0: D1CB0039 85F47339
	v_fma_f32 v58, v58, s57, -v126                             // 000000006CE8: D1CB003A 85F8733A
	v_fma_f32 v59, v59, s57, -v127                             // 000000006CF0: D1CB003B 85FC733B
	v_mfma_f32_16x16x16_bf16 v[72:75], v[104:105], a[108:109], v[72:75]// 000000006CF8: D3E10048 1522D968
	v_exp_f32_e32 v48, v48                                     // 000000006D00: 7E604130
	v_mfma_f32_16x16x16_bf16 v[72:75], v[106:107], a[110:111], v[72:75]// 000000006D04: D3E10048 1522DD6A
	v_exp_f32_e32 v49, v49                                     // 000000006D0C: 7E624131
	v_mfma_f32_16x16x16_bf16 v[76:79], v[92:93], a[112:113], 0 // 000000006D10: D3E1004C 1202E15C
	ds_read_b64 v[136:137], v19 offset:24320                   // 000000006D18: D8EC5F00 88000013
	ds_read_b64 v[138:139], v19 offset:26368                   // 000000006D20: D8EC6700 8A000013
	v_mfma_f32_16x16x16_bf16 v[76:79], v[94:95], a[114:115], v[76:79]// 000000006D28: D3E1004C 1532E55E
	v_exp_f32_e32 v50, v50                                     // 000000006D30: 7E644132
	v_mfma_f32_16x16x16_bf16 v[76:79], v[96:97], a[116:117], v[76:79]// 000000006D34: D3E1004C 1532E960
	ds_read_b64 v[140:141], v19 offset:28416                   // 000000006D3C: D8EC6F00 8C000013
	ds_read_b64 v[142:143], v19 offset:30464                   // 000000006D44: D8EC7700 8E000013
	v_mfma_f32_16x16x16_bf16 v[76:79], v[98:99], a[118:119], v[76:79]// 000000006D4C: D3E1004C 1532ED62
	v_exp_f32_e32 v51, v51                                     // 000000006D54: 7E664133
	v_mfma_f32_16x16x16_bf16 v[76:79], v[100:101], a[120:121], v[76:79]// 000000006D58: D3E1004C 1532F164
	v_exp_f32_e32 v52, v52                                     // 000000006D60: 7E684134
	v_mfma_f32_16x16x16_bf16 v[76:79], v[102:103], a[122:123], v[76:79]// 000000006D64: D3E1004C 1532F566
	v_exp_f32_e32 v53, v53                                     // 000000006D6C: 7E6A4135
	v_mfma_f32_16x16x16_bf16 v[76:79], v[104:105], a[124:125], v[76:79]// 000000006D70: D3E1004C 1532F968
	v_exp_f32_e32 v54, v54                                     // 000000006D78: 7E6C4136
	v_mfma_f32_16x16x16_bf16 v[76:79], v[106:107], a[126:127], v[76:79]// 000000006D7C: D3E1004C 1532FD6A
	v_exp_f32_e32 v55, v55                                     // 000000006D84: 7E6E4137
	v_mfma_f32_16x16x16_bf16 v[80:83], v[92:93], a[128:129], 0 // 000000006D88: D3E10050 1203015C
	v_exp_f32_e32 v56, v56                                     // 000000006D90: 7E704138
	v_mfma_f32_16x16x16_bf16 v[80:83], v[94:95], a[130:131], v[80:83]// 000000006D94: D3E10050 1543055E
	v_exp_f32_e32 v57, v57                                     // 000000006D9C: 7E724139
	v_mfma_f32_16x16x16_bf16 v[80:83], v[96:97], a[132:133], v[80:83]// 000000006DA0: D3E10050 15430960
	v_exp_f32_e32 v58, v58                                     // 000000006DA8: 7E74413A
	v_mfma_f32_16x16x16_bf16 v[80:83], v[98:99], a[134:135], v[80:83]// 000000006DAC: D3E10050 15430D62
	v_exp_f32_e32 v59, v59                                     // 000000006DB4: 7E76413B
	v_mfma_f32_16x16x16_bf16 v[80:83], v[100:101], a[136:137], v[80:83]// 000000006DB8: D3E10050 15431164
	v_cmp_u_f32_e64 s[78:79], v48, v48                         // 000000006DC0: D048004E 00026130
	v_bfe_u32 v248, v48, 16, 1                                 // 000000006DC8: D1C800F8 02052130
	v_add3_u32 v248, v48, v248, v251                           // 000000006DD0: D1FF00F8 07EFF130
	v_cndmask_b32_e64 v28, v248, v250, s[78:79]                // 000000006DD8: D100001C 013BF5F8
	v_lshrrev_b32_e32 v28, 16, v28                             // 000000006DE0: 20383890
	v_cmp_u_f32_e64 s[78:79], v49, v49                         // 000000006DE4: D048004E 00026331
	v_bfe_u32 v248, v49, 16, 1                                 // 000000006DEC: D1C800F8 02052131
	v_add3_u32 v248, v49, v248, v251                           // 000000006DF4: D1FF00F8 07EFF131
	v_cndmask_b32_e64 v29, v248, v250, s[78:79]                // 000000006DFC: D100001D 013BF5F8
	v_and_or_b32 v144, v29, v249, v28                          // 000000006E04: D2010090 0473F31D
	v_cmp_u_f32_e64 s[78:79], v50, v50                         // 000000006E0C: D048004E 00026532
	v_bfe_u32 v248, v50, 16, 1                                 // 000000006E14: D1C800F8 02052132
	v_add3_u32 v248, v50, v248, v251                           // 000000006E1C: D1FF00F8 07EFF132
	v_cndmask_b32_e64 v28, v248, v250, s[78:79]                // 000000006E24: D100001C 013BF5F8
	v_lshrrev_b32_e32 v28, 16, v28                             // 000000006E2C: 20383890
	v_cmp_u_f32_e64 s[78:79], v51, v51                         // 000000006E30: D048004E 00026733
	v_bfe_u32 v248, v51, 16, 1                                 // 000000006E38: D1C800F8 02052133
	v_add3_u32 v248, v51, v248, v251                           // 000000006E40: D1FF00F8 07EFF133
	v_cndmask_b32_e64 v29, v248, v250, s[78:79]                // 000000006E48: D100001D 013BF5F8
	v_and_or_b32 v145, v29, v249, v28                          // 000000006E50: D2010091 0473F31D
	v_cmp_u_f32_e64 s[78:79], v52, v52                         // 000000006E58: D048004E 00026934
	v_bfe_u32 v248, v52, 16, 1                                 // 000000006E60: D1C800F8 02052134
	v_add3_u32 v248, v52, v248, v251                           // 000000006E68: D1FF00F8 07EFF134
	v_cndmask_b32_e64 v28, v248, v250, s[78:79]                // 000000006E70: D100001C 013BF5F8
	v_lshrrev_b32_e32 v28, 16, v28                             // 000000006E78: 20383890
	v_cmp_u_f32_e64 s[78:79], v53, v53                         // 000000006E7C: D048004E 00026B35
	v_bfe_u32 v248, v53, 16, 1                                 // 000000006E84: D1C800F8 02052135
	v_add3_u32 v248, v53, v248, v251                           // 000000006E8C: D1FF00F8 07EFF135
	v_cndmask_b32_e64 v29, v248, v250, s[78:79]                // 000000006E94: D100001D 013BF5F8
	v_and_or_b32 v146, v29, v249, v28                          // 000000006E9C: D2010092 0473F31D
	v_mfma_f32_16x16x16_bf16 v[80:83], v[102:103], a[138:139], v[80:83]// 000000006EA4: D3E10050 15431566
	v_cmp_u_f32_e64 s[78:79], v54, v54                         // 000000006EAC: D048004E 00026D36
	v_bfe_u32 v248, v54, 16, 1                                 // 000000006EB4: D1C800F8 02052136
	v_add3_u32 v248, v54, v248, v251                           // 000000006EBC: D1FF00F8 07EFF136
	v_cndmask_b32_e64 v28, v248, v250, s[78:79]                // 000000006EC4: D100001C 013BF5F8
	v_lshrrev_b32_e32 v28, 16, v28                             // 000000006ECC: 20383890
	v_cmp_u_f32_e64 s[78:79], v55, v55                         // 000000006ED0: D048004E 00026F37
	v_bfe_u32 v248, v55, 16, 1                                 // 000000006ED8: D1C800F8 02052137
	v_add3_u32 v248, v55, v248, v251                           // 000000006EE0: D1FF00F8 07EFF137
	v_cndmask_b32_e64 v29, v248, v250, s[78:79]                // 000000006EE8: D100001D 013BF5F8
	v_and_or_b32 v147, v29, v249, v28                          // 000000006EF0: D2010093 0473F31D
	v_cmp_u_f32_e64 s[78:79], v56, v56                         // 000000006EF8: D048004E 00027138
	v_bfe_u32 v248, v56, 16, 1                                 // 000000006F00: D1C800F8 02052138
	v_add3_u32 v248, v56, v248, v251                           // 000000006F08: D1FF00F8 07EFF138
	v_cndmask_b32_e64 v28, v248, v250, s[78:79]                // 000000006F10: D100001C 013BF5F8
	v_lshrrev_b32_e32 v28, 16, v28                             // 000000006F18: 20383890
	v_cmp_u_f32_e64 s[78:79], v57, v57                         // 000000006F1C: D048004E 00027339
	v_bfe_u32 v248, v57, 16, 1                                 // 000000006F24: D1C800F8 02052139
	v_add3_u32 v248, v57, v248, v251                           // 000000006F2C: D1FF00F8 07EFF139
	v_cndmask_b32_e64 v29, v248, v250, s[78:79]                // 000000006F34: D100001D 013BF5F8
	v_and_or_b32 v148, v29, v249, v28                          // 000000006F3C: D2010094 0473F31D
	v_cmp_u_f32_e64 s[78:79], v58, v58                         // 000000006F44: D048004E 0002753A
	v_bfe_u32 v248, v58, 16, 1                                 // 000000006F4C: D1C800F8 0205213A
	v_add3_u32 v248, v58, v248, v251                           // 000000006F54: D1FF00F8 07EFF13A
	v_cndmask_b32_e64 v28, v248, v250, s[78:79]                // 000000006F5C: D100001C 013BF5F8
	v_lshrrev_b32_e32 v28, 16, v28                             // 000000006F64: 20383890
	v_cmp_u_f32_e64 s[78:79], v59, v59                         // 000000006F68: D048004E 0002773B
	v_bfe_u32 v248, v59, 16, 1                                 // 000000006F70: D1C800F8 0205213B
	v_add3_u32 v248, v59, v248, v251                           // 000000006F78: D1FF00F8 07EFF13B
	v_cndmask_b32_e64 v29, v248, v250, s[78:79]                // 000000006F80: D100001D 013BF5F8
	v_and_or_b32 v149, v29, v249, v28                          // 000000006F88: D2010095 0473F31D
	v_mfma_f32_16x16x16_bf16 v[80:83], v[104:105], a[140:141], v[80:83]// 000000006F90: D3E10050 15431968
	v_add_u32_e32 v7, s66, v7                                  // 000000006F98: 680E0E42
	v_add_u32_e32 v8, s66, v8                                  // 000000006F9C: 68101042
	v_mfma_f32_16x16x16_bf16 v[80:83], v[106:107], a[142:143], v[80:83]// 000000006FA0: D3E10050 15431D6A
	s_waitcnt lgkmcnt(0)                                       // 000000006FA8: BF8CC07F
	s_barrier                                                  // 000000006FAC: BF8A0000
	v_mfma_f32_16x16x16_bf16 v[152:155], v[108:109], v[144:145], v[152:155]// 000000006FB0: D3E10098 0663216C
	v_subrev_f32_dpp v72, v150, v72 quad_perm:[0,0,0,0] row_mask:0xf bank_mask:0xf// 000000006FB8: 069090FA FF000096
	v_subrev_f32_dpp v73, v150, v73 quad_perm:[1,1,1,1] row_mask:0xf bank_mask:0xf// 000000006FC0: 069292FA FF005596
	v_subrev_f32_dpp v74, v150, v74 quad_perm:[2,2,2,2] row_mask:0xf bank_mask:0xf// 000000006FC8: 069494FA FF00AA96
	v_mfma_f32_16x16x16_bf16 v[156:159], v[110:111], v[144:145], v[156:159]// 000000006FD0: D3E1009C 0673216E
	v_subrev_f32_dpp v75, v150, v75 quad_perm:[3,3,3,3] row_mask:0xf bank_mask:0xf// 000000006FD8: 069696FA FF00FF96
	v_subrev_f32_dpp v76, v150, v76 quad_perm:[0,0,0,0] row_mask:0xf bank_mask:0xf// 000000006FE0: 069898FA FF000096
	v_subrev_f32_dpp v77, v150, v77 quad_perm:[1,1,1,1] row_mask:0xf bank_mask:0xf// 000000006FE8: 069A9AFA FF005596
	v_mfma_f32_16x16x16_bf16 v[160:163], v[112:113], v[144:145], v[160:163]// 000000006FF0: D3E100A0 06832170
	v_mul_f32_e32 v72, v48, v72                                // 000000006FF8: 0A909130
	v_mul_f32_e32 v73, v49, v73                                // 000000006FFC: 0A929331
	v_mul_f32_e32 v74, v50, v74                                // 000000007000: 0A949532
	v_mfma_f32_16x16x16_bf16 v[164:167], v[114:115], v[144:145], v[164:167]// 000000007004: D3E100A4 06932172
	v_mul_f32_e32 v75, v51, v75                                // 00000000700C: 0A969733
	v_mul_f32_e32 v76, v52, v76                                // 000000007010: 0A989934
	v_mul_f32_e32 v77, v53, v77                                // 000000007014: 0A9A9B35
	v_mfma_f32_16x16x16_bf16 v[168:171], v[116:117], v[144:145], v[168:171]// 000000007018: D3E100A8 06A32174
	v_cmp_u_f32_e64 s[78:79], v72, v72                         // 000000007020: D048004E 00029148
	v_bfe_u32 v248, v72, 16, 1                                 // 000000007028: D1C800F8 02052148
	v_add3_u32 v248, v72, v248, v251                           // 000000007030: D1FF00F8 07EFF148
	v_cndmask_b32_e64 v28, v248, v250, s[78:79]                // 000000007038: D100001C 013BF5F8
	v_lshrrev_b32_e32 v28, 16, v28                             // 000000007040: 20383890
	v_cmp_u_f32_e64 s[78:79], v73, v73                         // 000000007044: D048004E 00029349
	v_bfe_u32 v248, v73, 16, 1                                 // 00000000704C: D1C800F8 02052149
	v_add3_u32 v248, v73, v248, v251                           // 000000007054: D1FF00F8 07EFF149
	v_cndmask_b32_e64 v29, v248, v250, s[78:79]                // 00000000705C: D100001D 013BF5F8
	v_and_or_b32 v72, v29, v249, v28                           // 000000007064: D2010048 0473F31D
	v_cmp_u_f32_e64 s[78:79], v74, v74                         // 00000000706C: D048004E 0002954A
	v_bfe_u32 v248, v74, 16, 1                                 // 000000007074: D1C800F8 0205214A
	v_add3_u32 v248, v74, v248, v251                           // 00000000707C: D1FF00F8 07EFF14A
	v_cndmask_b32_e64 v28, v248, v250, s[78:79]                // 000000007084: D100001C 013BF5F8
	v_lshrrev_b32_e32 v28, 16, v28                             // 00000000708C: 20383890
	v_cmp_u_f32_e64 s[78:79], v75, v75                         // 000000007090: D048004E 0002974B
	v_bfe_u32 v248, v75, 16, 1                                 // 000000007098: D1C800F8 0205214B
	v_add3_u32 v248, v75, v248, v251                           // 0000000070A0: D1FF00F8 07EFF14B
	v_cndmask_b32_e64 v29, v248, v250, s[78:79]                // 0000000070A8: D100001D 013BF5F8
	v_and_or_b32 v73, v29, v249, v28                           // 0000000070B0: D2010049 0473F31D
	v_cmp_u_f32_e64 s[78:79], v76, v76                         // 0000000070B8: D048004E 0002994C
	v_bfe_u32 v248, v76, 16, 1                                 // 0000000070C0: D1C800F8 0205214C
	v_add3_u32 v248, v76, v248, v251                           // 0000000070C8: D1FF00F8 07EFF14C
	v_cndmask_b32_e64 v28, v248, v250, s[78:79]                // 0000000070D0: D100001C 013BF5F8
	v_lshrrev_b32_e32 v28, 16, v28                             // 0000000070D8: 20383890
	v_cmp_u_f32_e64 s[78:79], v77, v77                         // 0000000070DC: D048004E 00029B4D
	v_bfe_u32 v248, v77, 16, 1                                 // 0000000070E4: D1C800F8 0205214D
	v_add3_u32 v248, v77, v248, v251                           // 0000000070EC: D1FF00F8 07EFF14D
	v_cndmask_b32_e64 v29, v248, v250, s[78:79]                // 0000000070F4: D100001D 013BF5F8
	v_and_or_b32 v74, v29, v249, v28                           // 0000000070FC: D201004A 0473F31D
	v_mfma_f32_16x16x16_bf16 v[172:175], v[118:119], v[144:145], v[172:175]// 000000007104: D3E100AC 06B32176
	v_mov_b32_dpp v16, v72 quad_perm:[1,0,3,2] row_mask:0xf bank_mask:0xf// 00000000710C: 7E2002FA FF00B148
	v_perm_b32 v48, v16, v72, v15                              // 000000007114: D1ED0030 043E9110
	v_mov_b32_dpp v16, v73 quad_perm:[1,0,3,2] row_mask:0xf bank_mask:0xf// 00000000711C: 7E2002FA FF00B149
	v_mfma_f32_16x16x16_bf16 v[176:179], v[120:121], v[144:145], v[176:179]// 000000007124: D3E100B0 06C32178
	v_perm_b32 v49, v16, v73, v15                              // 00000000712C: D1ED0031 043E9310
	v_mov_b32_dpp v16, v74 quad_perm:[1,0,3,2] row_mask:0xf bank_mask:0xf// 000000007134: 7E2002FA FF00B14A
	v_perm_b32 v50, v16, v74, v15                              // 00000000713C: D1ED0032 043E9510
	v_mfma_f32_16x16x16_bf16 v[180:183], v[122:123], v[144:145], v[180:183]// 000000007144: D3E100B4 06D3217A
	ds_write_b32 v18, v48 offset:17408                         // 00000000714C: D81A4400 00003012
	v_mfma_f32_16x16x16_bf16 v[184:187], v[108:109], v[146:147], v[184:187]// 000000007154: D3E100B8 06E3256C
	v_subrev_f32_dpp v78, v150, v78 quad_perm:[2,2,2,2] row_mask:0xf bank_mask:0xf// 00000000715C: 069C9CFA FF00AA96
	v_subrev_f32_dpp v79, v150, v79 quad_perm:[3,3,3,3] row_mask:0xf bank_mask:0xf// 000000007164: 069E9EFA FF00FF96
	v_subrev_f32_dpp v80, v150, v80 quad_perm:[0,0,0,0] row_mask:0xf bank_mask:0xf// 00000000716C: 06A0A0FA FF000096
	v_mfma_f32_16x16x16_bf16 v[188:191], v[110:111], v[146:147], v[188:191]// 000000007174: D3E100BC 06F3256E
	ds_write_b32 v18, v49 offset:17952                         // 00000000717C: D81A4620 00003112
	v_mfma_f32_16x16x16_bf16 v[192:195], v[112:113], v[146:147], v[192:195]// 000000007184: D3E100C0 07032570
	v_subrev_f32_dpp v81, v150, v81 quad_perm:[1,1,1,1] row_mask:0xf bank_mask:0xf// 00000000718C: 06A2A2FA FF005596
	v_subrev_f32_dpp v82, v150, v82 quad_perm:[2,2,2,2] row_mask:0xf bank_mask:0xf// 000000007194: 06A4A4FA FF00AA96
	v_subrev_f32_dpp v83, v150, v83 quad_perm:[3,3,3,3] row_mask:0xf bank_mask:0xf// 00000000719C: 06A6A6FA FF00FF96
	v_mfma_f32_16x16x16_bf16 v[196:199], v[114:115], v[146:147], v[196:199]// 0000000071A4: D3E100C4 07132572
	ds_write_b32 v18, v50 offset:19712                         // 0000000071AC: D81A4D00 00003212
	v_mfma_f32_16x16x16_bf16 v[200:203], v[116:117], v[146:147], v[200:203]// 0000000071B4: D3E100C8 07232574
	v_mul_f32_e32 v78, v54, v78                                // 0000000071BC: 0A9C9D36
	v_mul_f32_e32 v79, v55, v79                                // 0000000071C0: 0A9E9F37
	v_mul_f32_e32 v80, v56, v80                                // 0000000071C4: 0AA0A138
	v_mfma_f32_16x16x16_bf16 v[204:207], v[118:119], v[146:147], v[204:207]// 0000000071C8: D3E100CC 07332576
	v_mul_f32_e32 v81, v57, v81                                // 0000000071D0: 0AA2A339
	v_mul_f32_e32 v82, v58, v82                                // 0000000071D4: 0AA4A53A
	v_mul_f32_e32 v83, v59, v83                                // 0000000071D8: 0AA6A73B
	v_mfma_f32_16x16x16_bf16 v[208:211], v[120:121], v[146:147], v[208:211]// 0000000071DC: D3E100D0 07432578
	v_cmp_u_f32_e64 s[78:79], v78, v78                         // 0000000071E4: D048004E 00029D4E
	v_bfe_u32 v248, v78, 16, 1                                 // 0000000071EC: D1C800F8 0205214E
	v_add3_u32 v248, v78, v248, v251                           // 0000000071F4: D1FF00F8 07EFF14E
	v_cndmask_b32_e64 v28, v248, v250, s[78:79]                // 0000000071FC: D100001C 013BF5F8
	v_lshrrev_b32_e32 v28, 16, v28                             // 000000007204: 20383890
	v_cmp_u_f32_e64 s[78:79], v79, v79                         // 000000007208: D048004E 00029F4F
	v_bfe_u32 v248, v79, 16, 1                                 // 000000007210: D1C800F8 0205214F
	v_add3_u32 v248, v79, v248, v251                           // 000000007218: D1FF00F8 07EFF14F
	v_cndmask_b32_e64 v29, v248, v250, s[78:79]                // 000000007220: D100001D 013BF5F8
	v_and_or_b32 v75, v29, v249, v28                           // 000000007228: D201004B 0473F31D
	v_cmp_u_f32_e64 s[78:79], v80, v80                         // 000000007230: D048004E 0002A150
	v_bfe_u32 v248, v80, 16, 1                                 // 000000007238: D1C800F8 02052150
	v_add3_u32 v248, v80, v248, v251                           // 000000007240: D1FF00F8 07EFF150
	v_cndmask_b32_e64 v28, v248, v250, s[78:79]                // 000000007248: D100001C 013BF5F8
	v_lshrrev_b32_e32 v28, 16, v28                             // 000000007250: 20383890
	v_cmp_u_f32_e64 s[78:79], v81, v81                         // 000000007254: D048004E 0002A351
	v_bfe_u32 v248, v81, 16, 1                                 // 00000000725C: D1C800F8 02052151
	v_add3_u32 v248, v81, v248, v251                           // 000000007264: D1FF00F8 07EFF151
	v_cndmask_b32_e64 v29, v248, v250, s[78:79]                // 00000000726C: D100001D 013BF5F8
	v_and_or_b32 v76, v29, v249, v28                           // 000000007274: D201004C 0473F31D
	v_cmp_u_f32_e64 s[78:79], v82, v82                         // 00000000727C: D048004E 0002A552
	v_bfe_u32 v248, v82, 16, 1                                 // 000000007284: D1C800F8 02052152
	v_add3_u32 v248, v82, v248, v251                           // 00000000728C: D1FF00F8 07EFF152
	v_cndmask_b32_e64 v28, v248, v250, s[78:79]                // 000000007294: D100001C 013BF5F8
	v_lshrrev_b32_e32 v28, 16, v28                             // 00000000729C: 20383890
	v_cmp_u_f32_e64 s[78:79], v83, v83                         // 0000000072A0: D048004E 0002A753
	v_bfe_u32 v248, v83, 16, 1                                 // 0000000072A8: D1C800F8 02052153
	v_add3_u32 v248, v83, v248, v251                           // 0000000072B0: D1FF00F8 07EFF153
	v_cndmask_b32_e64 v29, v248, v250, s[78:79]                // 0000000072B8: D100001D 013BF5F8
	v_and_or_b32 v77, v29, v249, v28                           // 0000000072C0: D201004D 0473F31D
	v_mfma_f32_16x16x16_bf16 v[212:215], v[122:123], v[146:147], v[212:215]// 0000000072C8: D3E100D4 0753257A
	v_mov_b32_dpp v16, v75 quad_perm:[1,0,3,2] row_mask:0xf bank_mask:0xf// 0000000072D0: 7E2002FA FF00B14B
	v_perm_b32 v51, v16, v75, v15                              // 0000000072D8: D1ED0033 043E9710
	v_mov_b32_dpp v16, v76 quad_perm:[1,0,3,2] row_mask:0xf bank_mask:0xf// 0000000072E0: 7E2002FA FF00B14C
	v_mfma_f32_16x16x16_bf16 v[216:219], v[108:109], v[148:149], v[216:219]// 0000000072E8: D3E100D8 0763296C
	v_perm_b32 v52, v16, v76, v15                              // 0000000072F0: D1ED0034 043E9910
	v_mov_b32_dpp v16, v77 quad_perm:[1,0,3,2] row_mask:0xf bank_mask:0xf// 0000000072F8: 7E2002FA FF00B14D
	v_perm_b32 v53, v16, v77, v15                              // 000000007300: D1ED0035 043E9B10
	v_mfma_f32_16x16x16_bf16 v[220:223], v[110:111], v[148:149], v[220:223]// 000000007308: D3E100DC 0773296E
	ds_write_b32 v18, v51 offset:20256                         // 000000007310: D81A4F20 00003312
	v_mfma_f32_16x16x16_bf16 v[224:227], v[112:113], v[148:149], v[224:227]// 000000007318: D3E100E0 07832970
	v_mfma_f32_16x16x16_bf16 v[228:231], v[114:115], v[148:149], v[228:231]// 000000007320: D3E100E4 07932972
	ds_write_b32 v18, v52 offset:22016                         // 000000007328: D81A5600 00003412
	ds_write_b32 v18, v53 offset:22560                         // 000000007330: D81A5820 00003512
	v_mfma_f32_16x16x16_bf16 v[232:235], v[116:117], v[148:149], v[232:235]// 000000007338: D3E100E8 07A32974
	v_mfma_f32_16x16x16_bf16 v[236:239], v[118:119], v[148:149], v[236:239]// 000000007340: D3E100EC 07B32976
	ds_write_b32 v13, v84 offset:4352                          // 000000007348: D81A1100 0000540D
	ds_write_b32 v13, v85 offset:5408                          // 000000007350: D81A1520 0000550D
	v_mfma_f32_16x16x16_bf16 v[240:243], v[120:121], v[148:149], v[240:243]// 000000007358: D3E100F0 07C32978
	s_nop 0                                                    // 000000007360: BF800000
	s_nop 0                                                    // 000000007364: BF800000
	;; [unrolled: 1-line block ×3, first 2 shown]
	v_mfma_f32_16x16x16_bf16 v[244:247], v[122:123], v[148:149], v[244:247]// 00000000736C: D3E100F4 07D3297A
	ds_write_b32 v13, v86 offset:4480                          // 000000007374: D81A1180 0000560D
	ds_write_b32 v13, v87 offset:5536                          // 00000000737C: D81A15A0 0000570D
	s_barrier                                                  // 000000007384: BF8A0000
	v_mfma_f32_16x16x16_bf16 a[160:163], a[144:145], v[72:73], a[160:163]// 000000007388: D3E180A0 0E829190
	buffer_atomic_add_f32 v136, v7, s[32:35], 0 offen          // 000000007390: E1341000 80088807
	v_mfma_f32_16x16x16_bf16 a[164:167], a[146:147], v[72:73], a[164:167]// 000000007398: D3E180A4 0E929192
	ds_read_b32 v124, v21 offset:51200                         // 0000000073A0: D86CC800 7C000015
	ds_read_b32 v150, v21 offset:51456                         // 0000000073A8: D86CC900 96000015
	v_mfma_f32_16x16x16_bf16 a[168:171], a[148:149], v[72:73], a[168:171]// 0000000073B0: D3E180A8 0EA29194
	s_waitcnt lgkmcnt(6)                                       // 0000000073B8: BF8CC67F
	s_barrier                                                  // 0000000073BC: BF8A0000
	v_mfma_f32_16x16x16_bf16 a[172:175], a[150:151], v[72:73], a[172:175]// 0000000073C0: D3E180AC 0EB29196
	ds_read_b128 v[48:51], v17 offset:17408                    // 0000000073C8: D9FE4400 30000011
	v_mfma_f32_16x16x16_bf16 a[176:179], a[152:153], v[72:73], a[176:179]// 0000000073D0: D3E180B0 0EC29198
	v_mfma_f32_16x16x16_bf16 a[180:183], a[154:155], v[72:73], a[180:183]// 0000000073D8: D3E180B4 0ED2919A
	ds_read_b128 v[52:55], v17 offset:18560                    // 0000000073E0: D9FE4880 34000011
	v_mfma_f32_16x16x16_bf16 a[184:187], a[156:157], v[72:73], a[184:187]// 0000000073E8: D3E180B8 0EE2919C
	buffer_atomic_add_f32 v137, v8, s[32:35], 0 offen          // 0000000073F0: E1341000 80088908
	v_mfma_f32_16x16x16_bf16 a[188:191], a[158:159], v[72:73], a[188:191]// 0000000073F8: D3E180BC 0EF2919E
	ds_read_b128 v[56:59], v17 offset:19712                    // 000000007400: D9FE4D00 38000011
	v_mfma_f32_16x16x16_bf16 a[192:195], a[144:145], v[74:75], a[192:195]// 000000007408: D3E180C0 0F029590
	v_mfma_f32_16x16x16_bf16 a[196:199], a[146:147], v[74:75], a[196:199]// 000000007410: D3E180C4 0F129592
	ds_read_b128 v[60:63], v17 offset:20864                    // 000000007418: D9FE5180 3C000011
	v_mfma_f32_16x16x16_bf16 a[200:203], a[148:149], v[74:75], a[200:203]// 000000007420: D3E180C8 0F229594
	v_mfma_f32_16x16x16_bf16 a[204:207], a[150:151], v[74:75], a[204:207]// 000000007428: D3E180CC 0F329596
	ds_read_b128 v[64:67], v17 offset:22016                    // 000000007430: D9FE5600 40000011
	v_mfma_f32_16x16x16_bf16 a[208:211], a[152:153], v[74:75], a[208:211]// 000000007438: D3E180D0 0F429598
	buffer_atomic_add_f32 v138, v7, s[32:35], 0 offen offset:128// 000000007440: E1341080 80088A07
	v_mfma_f32_16x16x16_bf16 a[212:215], a[154:155], v[74:75], a[212:215]// 000000007448: D3E180D4 0F52959A
	ds_read_b128 v[68:71], v17 offset:23168                    // 000000007450: D9FE5A80 44000011
	v_mfma_f32_16x16x16_bf16 a[216:219], a[156:157], v[74:75], a[216:219]// 000000007458: D3E180D8 0F62959C
	v_mfma_f32_16x16x16_bf16 a[220:223], a[158:159], v[74:75], a[220:223]// 000000007460: D3E180DC 0F72959E
	ds_write_b32 v13, v88 offset:13056                         // 000000007468: D81A3300 0000580D
	v_mfma_f32_16x16x16_bf16 a[224:227], a[144:145], v[76:77], a[224:227]// 000000007470: D3E180E0 0F829990
	v_mfma_f32_16x16x16_bf16 a[228:231], a[146:147], v[76:77], a[228:231]// 000000007478: D3E180E4 0F929992
	ds_write_b32 v13, v89 offset:14112                         // 000000007480: D81A3720 0000590D
	v_mfma_f32_16x16x16_bf16 a[232:235], a[148:149], v[76:77], a[232:235]// 000000007488: D3E180E8 0FA29994
	buffer_atomic_add_f32 v139, v8, s[32:35], 0 offen offset:128// 000000007490: E1341080 80088B08
	v_mfma_f32_16x16x16_bf16 a[236:239], a[150:151], v[76:77], a[236:239]// 000000007498: D3E180EC 0FB29996
	ds_write_b32 v13, v90 offset:13184                         // 0000000074A0: D81A3380 00005A0D
	v_mfma_f32_16x16x16_bf16 a[240:243], a[152:153], v[76:77], a[240:243]// 0000000074A8: D3E180F0 0FC29998
	v_mfma_f32_16x16x16_bf16 a[244:247], a[154:155], v[76:77], a[244:247]// 0000000074B0: D3E180F4 0FD2999A
	ds_write_b32 v13, v91 offset:14240                         // 0000000074B8: D81A37A0 00005B0D
	v_mfma_f32_16x16x16_bf16 a[248:251], a[156:157], v[76:77], a[248:251]// 0000000074C0: D3E180F8 0FE2999C
	v_mfma_f32_16x16x16_bf16 a[252:255], a[158:159], v[76:77], a[252:255]// 0000000074C8: D3E180FC 0FF2999E
	s_waitcnt vmcnt(8) lgkmcnt(4)                              // 0000000074D0: BF8C0478
	s_barrier                                                  // 0000000074D4: BF8A0000
	v_mfma_f32_16x16x16_bf16 v[128:131], v[48:49], a[48:49], 0 // 0000000074D8: D3E10080 12026130
	v_mul_f32_e32 v124, s48, v124                              // 0000000074E0: 0AF8F830
	s_nop 0                                                    // 0000000074E4: BF800000
	v_mfma_f32_16x16x16_bf16 v[128:131], v[50:51], a[52:53], v[128:131]// 0000000074E8: D3E10080 16026932
	ds_read_b128 a[144:147], v10                               // 0000000074F0: DBFE0000 9000000A
	v_mov_b32_e32 v36, 0                                       // 0000000074F8: 7E480280
	s_mov_b64 exec, s[90:91]                                   // 0000000074FC: BEFE015A
	buffer_load_dword v36, v1, s[8:11], 0 idxen                // 000000007500: E0502000 80022401
	s_mov_b32 exec_lo, -1                                      // 000000007508: BEFE00C1
	s_mov_b32 exec_hi, -1                                      // 00000000750C: BEFF00C1
	v_mfma_f32_16x16x16_bf16 v[128:131], v[52:53], a[56:57], v[128:131]// 000000007510: D3E10080 16027134
	v_mfma_f32_16x16x16_bf16 v[128:131], v[54:55], a[60:61], v[128:131]// 000000007518: D3E10080 16027936
	ds_read_b128 a[148:151], v10 offset:512                    // 000000007520: DBFE0200 9400000A
	v_mov_b32_e32 v37, 0                                       // 000000007528: 7E4A0280
	s_mov_b64 exec, s[90:91]                                   // 00000000752C: BEFE015A
	buffer_load_dword v37, v2, s[8:11], 0 idxen                // 000000007530: E0502000 80022502
	s_mov_b32 exec_lo, -1                                      // 000000007538: BEFE00C1
	s_mov_b32 exec_hi, -1                                      // 00000000753C: BEFF00C1
	v_mfma_f32_16x16x16_bf16 v[128:131], v[56:57], a[64:65], v[128:131]// 000000007540: D3E10080 16028138
	v_perm_b32 v84, v33, v32, s63                              // 000000007548: D1ED0054 00FE4121
	v_perm_b32 v85, v33, v32, s64                              // 000000007550: D1ED0055 01024121
	v_mfma_f32_16x16x16_bf16 v[128:131], v[58:59], a[68:69], v[128:131]// 000000007558: D3E10080 1602893A
	ds_read_b128 a[152:155], v10 offset:2176                   // 000000007560: DBFE0880 9800000A
	v_mov_b32_e32 v38, 0                                       // 000000007568: 7E4C0280
	s_mov_b64 exec, s[90:91]                                   // 00000000756C: BEFE015A
	buffer_load_dword v38, v3, s[8:11], 0 idxen                // 000000007570: E0502000 80022603
	s_mov_b32 exec_lo, -1                                      // 000000007578: BEFE00C1
	s_mov_b32 exec_hi, -1                                      // 00000000757C: BEFF00C1
	v_mfma_f32_16x16x16_bf16 v[128:131], v[60:61], a[72:73], v[128:131]// 000000007580: D3E10080 1602913C
	v_perm_b32 v86, v35, v34, s63                              // 000000007588: D1ED0056 00FE4523
	v_perm_b32 v87, v35, v34, s64                              // 000000007590: D1ED0057 01024523
	v_mfma_f32_16x16x16_bf16 v[128:131], v[62:63], a[76:77], v[128:131]// 000000007598: D3E10080 1602993E
	ds_read_b128 a[156:159], v10 offset:2688                   // 0000000075A0: DBFE0A80 9C00000A
	v_mov_b32_e32 v39, 0                                       // 0000000075A8: 7E4E0280
	s_mov_b64 exec, s[90:91]                                   // 0000000075AC: BEFE015A
	buffer_load_dword v39, v4, s[8:11], 0 idxen                // 0000000075B0: E0502000 80022704
	s_mov_b32 exec_lo, -1                                      // 0000000075B8: BEFE00C1
	s_mov_b32 exec_hi, -1                                      // 0000000075BC: BEFF00C1
	v_mfma_f32_16x16x16_bf16 v[128:131], v[64:65], a[80:81], v[128:131]// 0000000075C0: D3E10080 1602A140
	v_perm_b32 v88, v41, v40, s63                              // 0000000075C8: D1ED0058 00FE5129
	v_perm_b32 v89, v41, v40, s64                              // 0000000075D0: D1ED0059 01025129
	v_mfma_f32_16x16x16_bf16 v[128:131], v[66:67], a[84:85], v[128:131]// 0000000075D8: D3E10080 1602A942
	ds_read_b128 v[92:95], v10 offset:8704                     // 0000000075E0: D9FE2200 5C00000A
	v_mov_b32_e32 v44, 0                                       // 0000000075E8: 7E580280
	s_mov_b64 exec, s[90:91]                                   // 0000000075EC: BEFE015A
	buffer_load_dword v44, v252, s[20:23], 0 idxen             // 0000000075F0: E0502000 80052CFC
	s_mov_b32 exec_lo, -1                                      // 0000000075F8: BEFE00C1
	s_mov_b32 exec_hi, -1                                      // 0000000075FC: BEFF00C1
	v_mfma_f32_16x16x16_bf16 v[128:131], v[68:69], a[88:89], v[128:131]// 000000007600: D3E10080 1602B144
	v_perm_b32 v90, v43, v42, s63                              // 000000007608: D1ED005A 00FE552B
	v_perm_b32 v91, v43, v42, s64                              // 000000007610: D1ED005B 0102552B
	v_mfma_f32_16x16x16_bf16 v[128:131], v[70:71], a[92:93], v[128:131]// 000000007618: D3E10080 1602B946
	ds_read_b128 v[96:99], v10 offset:9216                     // 000000007620: D9FE2400 6000000A
	v_mov_b32_e32 v45, 0                                       // 000000007628: 7E5A0280
	s_mov_b64 exec, s[90:91]                                   // 00000000762C: BEFE015A
	buffer_load_dword v45, v253, s[20:23], 0 idxen             // 000000007630: E0502000 80052DFD
	s_mov_b32 exec_lo, -1                                      // 000000007638: BEFE00C1
	s_mov_b32 exec_hi, -1                                      // 00000000763C: BEFF00C1
	v_mfma_f32_16x16x16_bf16 v[132:135], v[48:49], a[50:51], 0 // 000000007640: D3E10084 12026530
	v_mov_b32_dpp v127, v124 quad_perm:[3,3,3,3] row_mask:0xf bank_mask:0xf// 000000007648: 7EFE02FA FF00FF7C
	v_mov_b32_dpp v126, v124 quad_perm:[2,2,2,2] row_mask:0xf bank_mask:0xf// 000000007650: 7EFC02FA FF00AA7C
	v_mfma_f32_16x16x16_bf16 v[132:135], v[50:51], a[54:55], v[132:135]// 000000007658: D3E10084 16126D32
	ds_read_b128 v[100:103], v10 offset:10880                  // 000000007660: D9FE2A80 6400000A
	v_mov_b32_e32 v46, 0                                       // 000000007668: 7E5C0280
	s_mov_b64 exec, s[90:91]                                   // 00000000766C: BEFE015A
	buffer_load_dword v46, v254, s[20:23], 0 idxen             // 000000007670: E0502000 80052EFE
	s_mov_b32 exec_lo, -1                                      // 000000007678: BEFE00C1
	s_mov_b32 exec_hi, -1                                      // 00000000767C: BEFF00C1
	v_mfma_f32_16x16x16_bf16 v[132:135], v[52:53], a[58:59], v[132:135]// 000000007680: D3E10084 16127534
	v_mov_b32_dpp v125, v124 quad_perm:[1,1,1,1] row_mask:0xf bank_mask:0xf// 000000007688: 7EFA02FA FF00557C
	v_mov_b32_dpp v124, v124 quad_perm:[0,0,0,0] row_mask:0xf bank_mask:0xf// 000000007690: 7EF802FA FF00007C
	s_add_u32 s60, 64, s59                                     // 000000007698: 803C3BC0
	v_mfma_f32_16x16x16_bf16 v[132:135], v[54:55], a[62:63], v[132:135]// 00000000769C: D3E10084 16127D36
	ds_read_b128 v[104:107], v10 offset:11392                  // 0000000076A4: D9FE2C80 6800000A
	v_mov_b32_e32 v47, 0                                       // 0000000076AC: 7E5E0280
	s_mov_b64 exec, s[90:91]                                   // 0000000076B0: BEFE015A
	buffer_load_dword v47, v255, s[20:23], 0 idxen             // 0000000076B4: E0502000 80052FFF
	s_mov_b32 exec_lo, -1                                      // 0000000076BC: BEFE00C1
	s_mov_b32 exec_hi, -1                                      // 0000000076C0: BEFF00C1
	v_mfma_f32_16x16x16_bf16 v[132:135], v[56:57], a[66:67], v[132:135]// 0000000076C4: D3E10084 16128538
	s_cmp_lt_u32 s60, s58                                      // 0000000076CC: BF0A3A3C
	s_cselect_b32 s68, s68, 0                                  // 0000000076D0: 85448044
	s_cselect_b32 s99, s99, 0                                  // 0000000076D4: 85638063
	s_cselect_b32 s69, s69, 0                                  // 0000000076D8: 85458045
	v_mfma_f32_16x16x16_bf16 v[132:135], v[58:59], a[70:71], v[132:135]// 0000000076DC: D3E10084 16128D3A
	buffer_load_dword v9, s[24:27], 0 idxen lds                // 0000000076E4: E0512000 80060009
	v_mfma_f32_16x16x16_bf16 v[132:135], v[60:61], a[74:75], v[132:135]// 0000000076EC: D3E10084 1612953C
	v_add_u32_e32 v1, s68, v1                                  // 0000000076F4: 68020244
	v_add_u32_e32 v2, s68, v2                                  // 0000000076F8: 68040444
	v_add_u32_e32 v3, s68, v3                                  // 0000000076FC: 68060644
	v_add_u32_e32 v4, s68, v4                                  // 000000007700: 68080844
	v_mfma_f32_16x16x16_bf16 v[132:135], v[62:63], a[78:79], v[132:135]// 000000007704: D3E10084 16129D3E
	v_add_u32_e32 v252, s99, v252                              // 00000000770C: 69F9F863
	v_add_u32_e32 v253, s99, v253                              // 000000007710: 69FBFA63
	v_add_u32_e32 v254, s99, v254                              // 000000007714: 69FDFC63
	v_add_u32_e32 v255, s99, v255                              // 000000007718: 69FFFE63
	v_mfma_f32_16x16x16_bf16 v[132:135], v[64:65], a[82:83], v[132:135]// 00000000771C: D3E10084 1612A540
	s_mov_b32 m0, s80                                          // 000000007724: BEFC0050
	v_add_u32_e32 v9, s69, v9                                  // 000000007728: 68121245
	v_mfma_f32_16x16x16_bf16 v[132:135], v[66:67], a[86:87], v[132:135]// 00000000772C: D3E10084 1612AD42
	s_cmp_ge_u32 s59, s73                                      // 000000007734: BF09493B
	s_cselect_b32 s66, s67, s66                                // 000000007738: 85424243
	v_mfma_f32_16x16x16_bf16 v[132:135], v[68:69], a[90:91], v[132:135]// 00000000773C: D3E10084 1612B544
	s_addk_i32 s59, 0x10                                       // 000000007744: B73B0010
	s_nop 0                                                    // 000000007748: BF800000
	s_cmp_lt_i32 s59, s58                                      // 00000000774C: BF043A3B
	v_mfma_f32_16x16x16_bf16 v[132:135], v[70:71], a[94:95], v[132:135]// 000000007750: D3E10084 1612BD46
	s_cbranch_scc0 label_1253                                  // 000000007758: BF8403F2
	s_waitcnt lgkmcnt(0)                                       // 00000000775C: BF8CC07F
	s_barrier                                                  // 000000007760: BF8A0000
	v_mfma_f32_16x16x16_bf16 v[48:51], a[144:145], a[0:1], 0   // 000000007764: D3E10030 1A020190
	ds_write_b32 v11, v40 offset:8704                          // 00000000776C: D81A2200 0000280B
	ds_write_b32 v11, v41 offset:9760                          // 000000007774: D81A2620 0000290B
	v_mfma_f32_16x16x16_bf16 v[48:51], a[146:147], a[2:3], v[48:51]// 00000000777C: D3E10030 1CC20592
	v_mul_f32_e32 v128, s47, v128                              // 000000007784: 0B01002F
	v_mul_f32_e32 v129, s47, v129                              // 000000007788: 0B03022F
	v_mfma_f32_16x16x16_bf16 v[48:51], a[148:149], a[4:5], v[48:51]// 00000000778C: D3E10030 1CC20994
	ds_write_b32 v11, v42 offset:8832                          // 000000007794: D81A2280 00002A0B
	ds_write_b32 v11, v43 offset:9888                          // 00000000779C: D81A26A0 00002B0B
	v_mfma_f32_16x16x16_bf16 v[48:51], a[150:151], a[6:7], v[48:51]// 0000000077A4: D3E10030 1CC20D96
	v_mul_f32_e32 v130, s47, v130                              // 0000000077AC: 0B05042F
	v_mul_f32_e32 v131, s47, v131                              // 0000000077B0: 0B07062F
	v_mfma_f32_16x16x16_bf16 v[48:51], a[152:153], a[8:9], v[48:51]// 0000000077B4: D3E10030 1CC21198
	ds_write_b64 v20, v[128:129] offset:24320                  // 0000000077BC: D89A5F00 00008014
	v_mfma_f32_16x16x16_bf16 v[48:51], a[154:155], a[10:11], v[48:51]// 0000000077C4: D3E10030 1CC2159A
	v_mul_f32_e32 v132, s47, v132                              // 0000000077CC: 0B09082F
	v_mul_f32_e32 v133, s47, v133                              // 0000000077D0: 0B0B0A2F
	v_mfma_f32_16x16x16_bf16 v[48:51], a[156:157], a[12:13], v[48:51]// 0000000077D4: D3E10030 1CC2199C
	ds_write_b64 v20, v[130:131] offset:24832                  // 0000000077DC: D89A6100 00008214
	v_mfma_f32_16x16x16_bf16 v[48:51], a[158:159], a[14:15], v[48:51]// 0000000077E4: D3E10030 1CC21D9E
	v_mul_f32_e32 v134, s47, v134                              // 0000000077EC: 0B0D0C2F
	v_mul_f32_e32 v135, s47, v135                              // 0000000077F0: 0B0F0E2F
	v_mfma_f32_16x16x16_bf16 v[52:55], a[144:145], a[16:17], 0 // 0000000077F4: D3E10034 1A022190
	ds_write_b64 v20, v[132:133] offset:25344                  // 0000000077FC: D89A6300 00008414
	v_mfma_f32_16x16x16_bf16 v[52:55], a[146:147], a[18:19], v[52:55]// 000000007804: D3E10034 1CD22592
	buffer_atomic_add_f32 v140, v7, s[32:35], 0 offen offset:256// 00000000780C: E1341100 80088C07
	v_mfma_f32_16x16x16_bf16 v[52:55], a[148:149], a[20:21], v[52:55]// 000000007814: D3E10034 1CD22994
	ds_write_b64 v20, v[134:135] offset:25856                  // 00000000781C: D89A6500 00008614
	v_mfma_f32_16x16x16_bf16 v[52:55], a[150:151], a[22:23], v[52:55]// 000000007824: D3E10034 1CD22D96
	v_mfma_f32_16x16x16_bf16 v[52:55], a[152:153], a[24:25], v[52:55]// 00000000782C: D3E10034 1CD23198
	ds_read_b128 v[108:111], v12 offset:13056                  // 000000007834: D9FE3300 6C00000C
	ds_write_b32 v11, v32                                      // 00000000783C: D81A0000 0000200B
	v_mfma_f32_16x16x16_bf16 v[52:55], a[154:155], a[26:27], v[52:55]// 000000007844: D3E10034 1CD2359A
	buffer_atomic_add_f32 v141, v8, s[32:35], 0 offen offset:256// 00000000784C: E1341100 80088D08
	v_mfma_f32_16x16x16_bf16 v[52:55], a[156:157], a[28:29], v[52:55]// 000000007854: D3E10034 1CD2399C
	v_mfma_f32_16x16x16_bf16 v[52:55], a[158:159], a[30:31], v[52:55]// 00000000785C: D3E10034 1CD23D9E
	ds_read_b128 v[112:115], v12 offset:13568                  // 000000007864: D9FE3500 7000000C
	ds_write_b32 v11, v33 offset:1056                          // 00000000786C: D81A0420 0000210B
	v_mfma_f32_16x16x16_bf16 v[56:59], a[144:145], a[32:33], 0 // 000000007874: D3E10038 1A024190
	buffer_atomic_add_f32 v142, v7, s[32:35], 0 offen offset:384// 00000000787C: E1341180 80088E07
	v_mfma_f32_16x16x16_bf16 v[56:59], a[146:147], a[34:35], v[56:59]// 000000007884: D3E10038 1CE24592
	v_mfma_f32_16x16x16_bf16 v[56:59], a[148:149], a[36:37], v[56:59]// 00000000788C: D3E10038 1CE24994
	ds_read_b128 v[116:119], v12 offset:15232                  // 000000007894: D9FE3B80 7400000C
	ds_write_b32 v11, v34 offset:128                           // 00000000789C: D81A0080 0000220B
	v_mfma_f32_16x16x16_bf16 v[56:59], a[150:151], a[38:39], v[56:59]// 0000000078A4: D3E10038 1CE24D96
	v_mfma_f32_16x16x16_bf16 v[56:59], a[152:153], a[40:41], v[56:59]// 0000000078AC: D3E10038 1CE25198
	buffer_atomic_add_f32 v143, v8, s[32:35], 0 offen offset:384// 0000000078B4: E1341180 80088F08
	v_mfma_f32_16x16x16_bf16 v[56:59], a[154:155], a[42:43], v[56:59]// 0000000078BC: D3E10038 1CE2559A
	ds_read_b128 v[120:123], v12 offset:15744                  // 0000000078C4: D9FE3D80 7800000C
	ds_write_b32 v11, v35 offset:1184                          // 0000000078CC: D81A04A0 0000230B
	v_mfma_f32_16x16x16_bf16 v[56:59], a[156:157], a[44:45], v[56:59]// 0000000078D4: D3E10038 1CE2599C
	v_mfma_f32_16x16x16_bf16 v[56:59], a[158:159], a[46:47], v[56:59]// 0000000078DC: D3E10038 1CE25D9E
	s_cmp_lt_i32 s74, 12                                       // 0000000078E4: BF048C4A
	s_cbranch_scc0 label_0F35                                  // 0000000078E8: BF840075
	s_mov_b32 s60, 0xffe0fffe                                  // 0000000078EC: BEBC00FF FFE0FFFE
	s_mov_b32 s61, 0xe000fe00                                  // 0000000078F4: BEBD00FF E000FE00
	s_nop 0                                                    // 0000000078FC: BF800000
	s_add_u32 s62, 0, s46                                      // 000000007900: 803E2E80
	s_cmp_lt_i32 s74, s62                                      // 000000007904: BF043E4A
	s_cbranch_scc1 label_0EF0                                  // 000000007908: BF850028
	s_cmp_eq_i32 s74, s62                                      // 00000000790C: BF003E4A
	s_cbranch_scc1 label_0ED5                                  // 000000007910: BF85000B
	s_add_u32 s62, 4, s46                                      // 000000007914: 803E2E84
	s_cmp_lt_i32 s74, s62                                      // 000000007918: BF043E4A
	s_cbranch_scc1 label_0F10                                  // 00000000791C: BF850043
	s_cmp_eq_i32 s74, s62                                      // 000000007920: BF003E4A
	s_cbranch_scc1 label_0EF5                                  // 000000007924: BF850026
	s_add_u32 s62, 8, s46                                      // 000000007928: 803E2E88
	s_cmp_lt_i32 s74, s62                                      // 00000000792C: BF043E4A
	s_cbranch_scc1 label_0F30                                  // 000000007930: BF85005E
	s_cmp_eq_i32 s74, s62                                      // 000000007934: BF003E4A
	s_cbranch_scc1 label_0F15                                  // 000000007938: BF850041
	s_branch label_0F35                                        // 00000000793C: BF820060

0000000000007940 <label_0ED5>:
	v_cndmask_b32_e64 v48, v48, v151, s[60:61]                 // 000000007940: D1000030 00F32F30
	s_lshl_b32 s60, s60, 1                                     // 000000007948: 8E3C813C
	s_lshl_b32 s61, s61, 1                                     // 00000000794C: 8E3D813D
	s_and_b32 s60, 0xfffeffff, s60                             // 000000007950: 863C3CFF FFFEFFFF
	s_and_b32 s61, 0xfffeffff, s61                             // 000000007958: 863D3DFF FFFEFFFF
	v_cndmask_b32_e64 v49, v49, v151, s[60:61]                 // 000000007960: D1000031 00F32F31
	s_lshl_b32 s60, s60, 1                                     // 000000007968: 8E3C813C
	s_lshl_b32 s61, s61, 1                                     // 00000000796C: 8E3D813D
	s_and_b32 s60, 0xfffeffff, s60                             // 000000007970: 863C3CFF FFFEFFFF
	s_and_b32 s61, 0xfffeffff, s61                             // 000000007978: 863D3DFF FFFEFFFF
	v_cndmask_b32_e64 v50, v50, v151, s[60:61]                 // 000000007980: D1000032 00F32F32
	s_lshl_b32 s60, s60, 1                                     // 000000007988: 8E3C813C
	s_lshl_b32 s61, s61, 1                                     // 00000000798C: 8E3D813D
	s_and_b32 s60, 0xfffeffff, s60                             // 000000007990: 863C3CFF FFFEFFFF
	s_and_b32 s61, 0xfffeffff, s61                             // 000000007998: 863D3DFF FFFEFFFF
	v_cndmask_b32_e64 v51, v51, v151, s[60:61]                 // 0000000079A0: D1000033 00F32F33
	s_branch label_0F10                                        // 0000000079A8: BF820020

00000000000079ac <label_0EF0>:
	v_mov_b32_e32 v48, v151                                    // 0000000079AC: 7E600397
	v_mov_b32_e32 v49, v151                                    // 0000000079B0: 7E620397
	v_mov_b32_e32 v50, v151                                    // 0000000079B4: 7E640397
	v_mov_b32_e32 v51, v151                                    // 0000000079B8: 7E660397
	s_branch label_0F10                                        // 0000000079BC: BF82001B

00000000000079c0 <label_0EF5>:
	v_cndmask_b32_e64 v52, v52, v151, s[60:61]                 // 0000000079C0: D1000034 00F32F34
	s_lshl_b32 s60, s60, 1                                     // 0000000079C8: 8E3C813C
	s_lshl_b32 s61, s61, 1                                     // 0000000079CC: 8E3D813D
	s_and_b32 s60, 0xfffeffff, s60                             // 0000000079D0: 863C3CFF FFFEFFFF
	s_and_b32 s61, 0xfffeffff, s61                             // 0000000079D8: 863D3DFF FFFEFFFF
	v_cndmask_b32_e64 v53, v53, v151, s[60:61]                 // 0000000079E0: D1000035 00F32F35
	s_lshl_b32 s60, s60, 1                                     // 0000000079E8: 8E3C813C
	s_lshl_b32 s61, s61, 1                                     // 0000000079EC: 8E3D813D
	s_and_b32 s60, 0xfffeffff, s60                             // 0000000079F0: 863C3CFF FFFEFFFF
	s_and_b32 s61, 0xfffeffff, s61                             // 0000000079F8: 863D3DFF FFFEFFFF
	v_cndmask_b32_e64 v54, v54, v151, s[60:61]                 // 000000007A00: D1000036 00F32F36
	s_lshl_b32 s60, s60, 1                                     // 000000007A08: 8E3C813C
	s_lshl_b32 s61, s61, 1                                     // 000000007A0C: 8E3D813D
	s_and_b32 s60, 0xfffeffff, s60                             // 000000007A10: 863C3CFF FFFEFFFF
	s_and_b32 s61, 0xfffeffff, s61                             // 000000007A18: 863D3DFF FFFEFFFF
	v_cndmask_b32_e64 v55, v55, v151, s[60:61]                 // 000000007A20: D1000037 00F32F37
	s_branch label_0F30                                        // 000000007A28: BF820020

0000000000007a2c <label_0F10>:
	v_mov_b32_e32 v52, v151                                    // 000000007A2C: 7E680397
	v_mov_b32_e32 v53, v151                                    // 000000007A30: 7E6A0397
	v_mov_b32_e32 v54, v151                                    // 000000007A34: 7E6C0397
	v_mov_b32_e32 v55, v151                                    // 000000007A38: 7E6E0397
	s_branch label_0F30                                        // 000000007A3C: BF82001B

0000000000007a40 <label_0F15>:
	v_cndmask_b32_e64 v56, v56, v151, s[60:61]                 // 000000007A40: D1000038 00F32F38
	s_lshl_b32 s60, s60, 1                                     // 000000007A48: 8E3C813C
	s_lshl_b32 s61, s61, 1                                     // 000000007A4C: 8E3D813D
	s_and_b32 s60, 0xfffeffff, s60                             // 000000007A50: 863C3CFF FFFEFFFF
	s_and_b32 s61, 0xfffeffff, s61                             // 000000007A58: 863D3DFF FFFEFFFF
	v_cndmask_b32_e64 v57, v57, v151, s[60:61]                 // 000000007A60: D1000039 00F32F39
	s_lshl_b32 s60, s60, 1                                     // 000000007A68: 8E3C813C
	s_lshl_b32 s61, s61, 1                                     // 000000007A6C: 8E3D813D
	s_and_b32 s60, 0xfffeffff, s60                             // 000000007A70: 863C3CFF FFFEFFFF
	s_and_b32 s61, 0xfffeffff, s61                             // 000000007A78: 863D3DFF FFFEFFFF
	v_cndmask_b32_e64 v58, v58, v151, s[60:61]                 // 000000007A80: D100003A 00F32F3A
	s_lshl_b32 s60, s60, 1                                     // 000000007A88: 8E3C813C
	s_lshl_b32 s61, s61, 1                                     // 000000007A8C: 8E3D813D
	s_and_b32 s60, 0xfffeffff, s60                             // 000000007A90: 863C3CFF FFFEFFFF
	s_and_b32 s61, 0xfffeffff, s61                             // 000000007A98: 863D3DFF FFFEFFFF
	v_cndmask_b32_e64 v59, v59, v151, s[60:61]                 // 000000007AA0: D100003B 00F32F3B
	s_branch label_0F35                                        // 000000007AA8: BF820005

0000000000007aac <label_0F30>:
	v_mov_b32_e32 v56, v151                                    // 000000007AAC: 7E700397
	v_mov_b32_e32 v57, v151                                    // 000000007AB0: 7E720397
	v_mov_b32_e32 v58, v151                                    // 000000007AB4: 7E740397
	v_mov_b32_e32 v59, v151                                    // 000000007AB8: 7E760397
	s_branch label_0F35                                        // 000000007ABC: BF820000

0000000000007ac0 <label_0F35>:
	s_cmp_lt_i32 s100, 0xc0                                    // 000000007AC0: BF04FF64 000000C0
	s_cbranch_scc0 label_0F8A                                  // 000000007AC8: BF84004D
	s_cmp_le_i32 s100, 64                                      // 000000007ACC: BF05C064
	s_cbranch_scc1 label_0F41                                  // 000000007AD0: BF850007
	s_cmp_le_i32 s100, 0x80                                    // 000000007AD4: BF05FF64 00000080
	s_cbranch_scc1 label_0F59                                  // 000000007ADC: BF850017
	s_cmp_lt_i32 s100, 0xc0                                    // 000000007AE0: BF04FF64 000000C0
	s_cbranch_scc1 label_0F71                                  // 000000007AE8: BF85002C
	s_branch label_0F8A                                        // 000000007AEC: BF820044

0000000000007af0 <label_0F41>:
	s_mov_b32 s60, 0                                           // 000000007AF0: BEBC0080
	v_and_b32_e32 v28, 15, v0                                  // 000000007AF4: 2638008F
	v_add_u32_e64 v28, v28, s60                                // 000000007AF8: D134001C 0000791C
	v_mul_i32_i24_e64 v29, s46, 16                             // 000000007B00: D106001D 0001202E
	v_add_u32_e32 v28, v28, v29                                // 000000007B08: 68383B1C
	v_cmp_lt_u32_e64 s[60:61], v28, s100                       // 000000007B0C: D0C9003C 0000C91C
	s_nop 1                                                    // 000000007B14: BF800001
	v_cndmask_b32_e64 v48, v151, v48, s[60:61]                 // 000000007B18: D1000030 00F26197
	v_cndmask_b32_e64 v49, v151, v49, s[60:61]                 // 000000007B20: D1000031 00F26397
	v_cndmask_b32_e64 v50, v151, v50, s[60:61]                 // 000000007B28: D1000032 00F26597
	v_cndmask_b32_e64 v51, v151, v51, s[60:61]                 // 000000007B30: D1000033 00F26797
	s_branch label_0F6C                                        // 000000007B38: BF820013

0000000000007b3c <label_0F59>:
	s_mov_b32 s60, 64                                          // 000000007B3C: BEBC00C0
	v_and_b32_e32 v28, 15, v0                                  // 000000007B40: 2638008F
	v_add_u32_e64 v28, v28, s60                                // 000000007B44: D134001C 0000791C
	v_mul_i32_i24_e64 v29, s46, 16                             // 000000007B4C: D106001D 0001202E
	v_add_u32_e32 v28, v28, v29                                // 000000007B54: 68383B1C
	v_cmp_lt_u32_e64 s[60:61], v28, s100                       // 000000007B58: D0C9003C 0000C91C
	s_nop 1                                                    // 000000007B60: BF800001
	v_cndmask_b32_e64 v52, v151, v52, s[60:61]                 // 000000007B64: D1000034 00F26997
	v_cndmask_b32_e64 v53, v151, v53, s[60:61]                 // 000000007B6C: D1000035 00F26B97
	v_cndmask_b32_e64 v54, v151, v54, s[60:61]                 // 000000007B74: D1000036 00F26D97
	v_cndmask_b32_e64 v55, v151, v55, s[60:61]                 // 000000007B7C: D1000037 00F26F97
	s_branch label_0F85                                        // 000000007B84: BF820019

0000000000007b88 <label_0F6C>:
	v_mov_b32_e32 v52, v151                                    // 000000007B88: 7E680397
	v_mov_b32_e32 v53, v151                                    // 000000007B8C: 7E6A0397
	v_mov_b32_e32 v54, v151                                    // 000000007B90: 7E6C0397
	v_mov_b32_e32 v55, v151                                    // 000000007B94: 7E6E0397
	s_branch label_0F85                                        // 000000007B98: BF820014

0000000000007b9c <label_0F71>:
	s_mov_b32 s60, 0x80                                        // 000000007B9C: BEBC00FF 00000080
	v_and_b32_e32 v28, 15, v0                                  // 000000007BA4: 2638008F
	v_add_u32_e64 v28, v28, s60                                // 000000007BA8: D134001C 0000791C
	v_mul_i32_i24_e64 v29, s46, 16                             // 000000007BB0: D106001D 0001202E
	v_add_u32_e32 v28, v28, v29                                // 000000007BB8: 68383B1C
	v_cmp_lt_u32_e64 s[60:61], v28, s100                       // 000000007BBC: D0C9003C 0000C91C
	s_nop 1                                                    // 000000007BC4: BF800001
	v_cndmask_b32_e64 v56, v151, v56, s[60:61]                 // 000000007BC8: D1000038 00F27197
	v_cndmask_b32_e64 v57, v151, v57, s[60:61]                 // 000000007BD0: D1000039 00F27397
	v_cndmask_b32_e64 v58, v151, v58, s[60:61]                 // 000000007BD8: D100003A 00F27597
	v_cndmask_b32_e64 v59, v151, v59, s[60:61]                 // 000000007BE0: D100003B 00F27797
	s_branch label_0F8A                                        // 000000007BE8: BF820005

0000000000007bec <label_0F85>:
	v_mov_b32_e32 v56, v151                                    // 000000007BEC: 7E700397
	v_mov_b32_e32 v57, v151                                    // 000000007BF0: 7E720397
	v_mov_b32_e32 v58, v151                                    // 000000007BF4: 7E740397
	v_mov_b32_e32 v59, v151                                    // 000000007BF8: 7E760397
	s_branch label_0F8A                                        // 000000007BFC: BF820000

0000000000007c00 <label_0F8A>:
	s_addk_i32 s74, 0x1                                        // 000000007C00: B74A0001
	s_waitcnt lgkmcnt(8)                                       // 000000007C04: BF8CC87F
	s_barrier                                                  // 000000007C08: BF8A0000
	v_mfma_f32_16x16x16_bf16 v[72:75], v[92:93], a[96:97], 0   // 000000007C0C: D3E10048 1202C15C
	ds_read_b128 a[144:147], v12 offset:4352                   // 000000007C14: DBFE1100 9000000C
	ds_read_b128 a[148:151], v12 offset:4864                   // 000000007C1C: DBFE1300 9400000C
	v_mfma_f32_16x16x16_bf16 v[72:75], v[94:95], a[98:99], v[72:75]// 000000007C24: D3E10048 1522C55E
	v_fma_f32 v48, v48, s57, -v124                             // 000000007C2C: D1CB0030 85F07330
	v_fma_f32 v49, v49, s57, -v125                             // 000000007C34: D1CB0031 85F47331
	v_fma_f32 v50, v50, s57, -v126                             // 000000007C3C: D1CB0032 85F87332
	v_mfma_f32_16x16x16_bf16 v[72:75], v[96:97], a[100:101], v[72:75]// 000000007C44: D3E10048 1522C960
	v_fma_f32 v51, v51, s57, -v127                             // 000000007C4C: D1CB0033 85FC7333
	v_fma_f32 v52, v52, s57, -v124                             // 000000007C54: D1CB0034 85F07334
	v_fma_f32 v53, v53, s57, -v125                             // 000000007C5C: D1CB0035 85F47335
	v_mfma_f32_16x16x16_bf16 v[72:75], v[98:99], a[102:103], v[72:75]// 000000007C64: D3E10048 1522CD62
	v_fma_f32 v54, v54, s57, -v126                             // 000000007C6C: D1CB0036 85F87336
	v_fma_f32 v55, v55, s57, -v127                             // 000000007C74: D1CB0037 85FC7337
	v_fma_f32 v56, v56, s57, -v124                             // 000000007C7C: D1CB0038 85F07338
	v_mfma_f32_16x16x16_bf16 v[72:75], v[100:101], a[104:105], v[72:75]// 000000007C84: D3E10048 1522D164
	ds_read_b128 a[152:155], v12 offset:6528                   // 000000007C8C: DBFE1980 9800000C
	ds_read_b128 a[156:159], v12 offset:7040                   // 000000007C94: DBFE1B80 9C00000C
	v_mfma_f32_16x16x16_bf16 v[72:75], v[102:103], a[106:107], v[72:75]// 000000007C9C: D3E10048 1522D566
	v_fma_f32 v57, v57, s57, -v125                             // 000000007CA4: D1CB0039 85F47339
	v_fma_f32 v58, v58, s57, -v126                             // 000000007CAC: D1CB003A 85F8733A
	v_fma_f32 v59, v59, s57, -v127                             // 000000007CB4: D1CB003B 85FC733B
	v_mfma_f32_16x16x16_bf16 v[72:75], v[104:105], a[108:109], v[72:75]// 000000007CBC: D3E10048 1522D968
	v_exp_f32_e32 v48, v48                                     // 000000007CC4: 7E604130
	v_mfma_f32_16x16x16_bf16 v[72:75], v[106:107], a[110:111], v[72:75]// 000000007CC8: D3E10048 1522DD6A
	v_exp_f32_e32 v49, v49                                     // 000000007CD0: 7E624131
	v_mfma_f32_16x16x16_bf16 v[76:79], v[92:93], a[112:113], 0 // 000000007CD4: D3E1004C 1202E15C
	ds_read_b64 v[136:137], v19 offset:24320                   // 000000007CDC: D8EC5F00 88000013
	ds_read_b64 v[138:139], v19 offset:26368                   // 000000007CE4: D8EC6700 8A000013
	v_mfma_f32_16x16x16_bf16 v[76:79], v[94:95], a[114:115], v[76:79]// 000000007CEC: D3E1004C 1532E55E
	v_exp_f32_e32 v50, v50                                     // 000000007CF4: 7E644132
	v_mfma_f32_16x16x16_bf16 v[76:79], v[96:97], a[116:117], v[76:79]// 000000007CF8: D3E1004C 1532E960
	ds_read_b64 v[140:141], v19 offset:28416                   // 000000007D00: D8EC6F00 8C000013
	ds_read_b64 v[142:143], v19 offset:30464                   // 000000007D08: D8EC7700 8E000013
	v_mfma_f32_16x16x16_bf16 v[76:79], v[98:99], a[118:119], v[76:79]// 000000007D10: D3E1004C 1532ED62
	v_exp_f32_e32 v51, v51                                     // 000000007D18: 7E664133
	v_mfma_f32_16x16x16_bf16 v[76:79], v[100:101], a[120:121], v[76:79]// 000000007D1C: D3E1004C 1532F164
	v_exp_f32_e32 v52, v52                                     // 000000007D24: 7E684134
	v_mfma_f32_16x16x16_bf16 v[76:79], v[102:103], a[122:123], v[76:79]// 000000007D28: D3E1004C 1532F566
	v_exp_f32_e32 v53, v53                                     // 000000007D30: 7E6A4135
	v_mfma_f32_16x16x16_bf16 v[76:79], v[104:105], a[124:125], v[76:79]// 000000007D34: D3E1004C 1532F968
	v_exp_f32_e32 v54, v54                                     // 000000007D3C: 7E6C4136
	v_mfma_f32_16x16x16_bf16 v[76:79], v[106:107], a[126:127], v[76:79]// 000000007D40: D3E1004C 1532FD6A
	v_exp_f32_e32 v55, v55                                     // 000000007D48: 7E6E4137
	v_mfma_f32_16x16x16_bf16 v[80:83], v[92:93], a[128:129], 0 // 000000007D4C: D3E10050 1203015C
	v_exp_f32_e32 v56, v56                                     // 000000007D54: 7E704138
	v_mfma_f32_16x16x16_bf16 v[80:83], v[94:95], a[130:131], v[80:83]// 000000007D58: D3E10050 1543055E
	v_exp_f32_e32 v57, v57                                     // 000000007D60: 7E724139
	v_mfma_f32_16x16x16_bf16 v[80:83], v[96:97], a[132:133], v[80:83]// 000000007D64: D3E10050 15430960
	v_exp_f32_e32 v58, v58                                     // 000000007D6C: 7E74413A
	v_mfma_f32_16x16x16_bf16 v[80:83], v[98:99], a[134:135], v[80:83]// 000000007D70: D3E10050 15430D62
	v_exp_f32_e32 v59, v59                                     // 000000007D78: 7E76413B
	v_mfma_f32_16x16x16_bf16 v[80:83], v[100:101], a[136:137], v[80:83]// 000000007D7C: D3E10050 15431164
	v_cmp_u_f32_e64 s[78:79], v48, v48                         // 000000007D84: D048004E 00026130
	v_bfe_u32 v248, v48, 16, 1                                 // 000000007D8C: D1C800F8 02052130
	v_add3_u32 v248, v48, v248, v251                           // 000000007D94: D1FF00F8 07EFF130
	v_cndmask_b32_e64 v28, v248, v250, s[78:79]                // 000000007D9C: D100001C 013BF5F8
	v_lshrrev_b32_e32 v28, 16, v28                             // 000000007DA4: 20383890
	v_cmp_u_f32_e64 s[78:79], v49, v49                         // 000000007DA8: D048004E 00026331
	v_bfe_u32 v248, v49, 16, 1                                 // 000000007DB0: D1C800F8 02052131
	v_add3_u32 v248, v49, v248, v251                           // 000000007DB8: D1FF00F8 07EFF131
	v_cndmask_b32_e64 v29, v248, v250, s[78:79]                // 000000007DC0: D100001D 013BF5F8
	v_and_or_b32 v144, v29, v249, v28                          // 000000007DC8: D2010090 0473F31D
	v_cmp_u_f32_e64 s[78:79], v50, v50                         // 000000007DD0: D048004E 00026532
	v_bfe_u32 v248, v50, 16, 1                                 // 000000007DD8: D1C800F8 02052132
	v_add3_u32 v248, v50, v248, v251                           // 000000007DE0: D1FF00F8 07EFF132
	v_cndmask_b32_e64 v28, v248, v250, s[78:79]                // 000000007DE8: D100001C 013BF5F8
	v_lshrrev_b32_e32 v28, 16, v28                             // 000000007DF0: 20383890
	v_cmp_u_f32_e64 s[78:79], v51, v51                         // 000000007DF4: D048004E 00026733
	v_bfe_u32 v248, v51, 16, 1                                 // 000000007DFC: D1C800F8 02052133
	v_add3_u32 v248, v51, v248, v251                           // 000000007E04: D1FF00F8 07EFF133
	v_cndmask_b32_e64 v29, v248, v250, s[78:79]                // 000000007E0C: D100001D 013BF5F8
	v_and_or_b32 v145, v29, v249, v28                          // 000000007E14: D2010091 0473F31D
	v_cmp_u_f32_e64 s[78:79], v52, v52                         // 000000007E1C: D048004E 00026934
	v_bfe_u32 v248, v52, 16, 1                                 // 000000007E24: D1C800F8 02052134
	v_add3_u32 v248, v52, v248, v251                           // 000000007E2C: D1FF00F8 07EFF134
	v_cndmask_b32_e64 v28, v248, v250, s[78:79]                // 000000007E34: D100001C 013BF5F8
	v_lshrrev_b32_e32 v28, 16, v28                             // 000000007E3C: 20383890
	v_cmp_u_f32_e64 s[78:79], v53, v53                         // 000000007E40: D048004E 00026B35
	v_bfe_u32 v248, v53, 16, 1                                 // 000000007E48: D1C800F8 02052135
	v_add3_u32 v248, v53, v248, v251                           // 000000007E50: D1FF00F8 07EFF135
	v_cndmask_b32_e64 v29, v248, v250, s[78:79]                // 000000007E58: D100001D 013BF5F8
	v_and_or_b32 v146, v29, v249, v28                          // 000000007E60: D2010092 0473F31D
	v_mfma_f32_16x16x16_bf16 v[80:83], v[102:103], a[138:139], v[80:83]// 000000007E68: D3E10050 15431566
	v_cmp_u_f32_e64 s[78:79], v54, v54                         // 000000007E70: D048004E 00026D36
	v_bfe_u32 v248, v54, 16, 1                                 // 000000007E78: D1C800F8 02052136
	v_add3_u32 v248, v54, v248, v251                           // 000000007E80: D1FF00F8 07EFF136
	v_cndmask_b32_e64 v28, v248, v250, s[78:79]                // 000000007E88: D100001C 013BF5F8
	v_lshrrev_b32_e32 v28, 16, v28                             // 000000007E90: 20383890
	v_cmp_u_f32_e64 s[78:79], v55, v55                         // 000000007E94: D048004E 00026F37
	v_bfe_u32 v248, v55, 16, 1                                 // 000000007E9C: D1C800F8 02052137
	v_add3_u32 v248, v55, v248, v251                           // 000000007EA4: D1FF00F8 07EFF137
	v_cndmask_b32_e64 v29, v248, v250, s[78:79]                // 000000007EAC: D100001D 013BF5F8
	v_and_or_b32 v147, v29, v249, v28                          // 000000007EB4: D2010093 0473F31D
	v_cmp_u_f32_e64 s[78:79], v56, v56                         // 000000007EBC: D048004E 00027138
	v_bfe_u32 v248, v56, 16, 1                                 // 000000007EC4: D1C800F8 02052138
	v_add3_u32 v248, v56, v248, v251                           // 000000007ECC: D1FF00F8 07EFF138
	v_cndmask_b32_e64 v28, v248, v250, s[78:79]                // 000000007ED4: D100001C 013BF5F8
	v_lshrrev_b32_e32 v28, 16, v28                             // 000000007EDC: 20383890
	v_cmp_u_f32_e64 s[78:79], v57, v57                         // 000000007EE0: D048004E 00027339
	v_bfe_u32 v248, v57, 16, 1                                 // 000000007EE8: D1C800F8 02052139
	v_add3_u32 v248, v57, v248, v251                           // 000000007EF0: D1FF00F8 07EFF139
	v_cndmask_b32_e64 v29, v248, v250, s[78:79]                // 000000007EF8: D100001D 013BF5F8
	v_and_or_b32 v148, v29, v249, v28                          // 000000007F00: D2010094 0473F31D
	v_cmp_u_f32_e64 s[78:79], v58, v58                         // 000000007F08: D048004E 0002753A
	v_bfe_u32 v248, v58, 16, 1                                 // 000000007F10: D1C800F8 0205213A
	v_add3_u32 v248, v58, v248, v251                           // 000000007F18: D1FF00F8 07EFF13A
	v_cndmask_b32_e64 v28, v248, v250, s[78:79]                // 000000007F20: D100001C 013BF5F8
	v_lshrrev_b32_e32 v28, 16, v28                             // 000000007F28: 20383890
	v_cmp_u_f32_e64 s[78:79], v59, v59                         // 000000007F2C: D048004E 0002773B
	v_bfe_u32 v248, v59, 16, 1                                 // 000000007F34: D1C800F8 0205213B
	v_add3_u32 v248, v59, v248, v251                           // 000000007F3C: D1FF00F8 07EFF13B
	v_cndmask_b32_e64 v29, v248, v250, s[78:79]                // 000000007F44: D100001D 013BF5F8
	v_and_or_b32 v149, v29, v249, v28                          // 000000007F4C: D2010095 0473F31D
	v_mfma_f32_16x16x16_bf16 v[80:83], v[104:105], a[140:141], v[80:83]// 000000007F54: D3E10050 15431968
	v_add_u32_e32 v7, s66, v7                                  // 000000007F5C: 680E0E42
	v_add_u32_e32 v8, s66, v8                                  // 000000007F60: 68101042
	v_mfma_f32_16x16x16_bf16 v[80:83], v[106:107], a[142:143], v[80:83]// 000000007F64: D3E10050 15431D6A
	s_waitcnt lgkmcnt(0)                                       // 000000007F6C: BF8CC07F
	s_barrier                                                  // 000000007F70: BF8A0000
	v_mfma_f32_16x16x16_bf16 v[152:155], v[108:109], v[144:145], v[152:155]// 000000007F74: D3E10098 0663216C
	v_subrev_f32_dpp v72, v150, v72 quad_perm:[0,0,0,0] row_mask:0xf bank_mask:0xf// 000000007F7C: 069090FA FF000096
	v_subrev_f32_dpp v73, v150, v73 quad_perm:[1,1,1,1] row_mask:0xf bank_mask:0xf// 000000007F84: 069292FA FF005596
	v_subrev_f32_dpp v74, v150, v74 quad_perm:[2,2,2,2] row_mask:0xf bank_mask:0xf// 000000007F8C: 069494FA FF00AA96
	v_mfma_f32_16x16x16_bf16 v[156:159], v[110:111], v[144:145], v[156:159]// 000000007F94: D3E1009C 0673216E
	v_subrev_f32_dpp v75, v150, v75 quad_perm:[3,3,3,3] row_mask:0xf bank_mask:0xf// 000000007F9C: 069696FA FF00FF96
	v_subrev_f32_dpp v76, v150, v76 quad_perm:[0,0,0,0] row_mask:0xf bank_mask:0xf// 000000007FA4: 069898FA FF000096
	v_subrev_f32_dpp v77, v150, v77 quad_perm:[1,1,1,1] row_mask:0xf bank_mask:0xf// 000000007FAC: 069A9AFA FF005596
	v_mfma_f32_16x16x16_bf16 v[160:163], v[112:113], v[144:145], v[160:163]// 000000007FB4: D3E100A0 06832170
	v_mul_f32_e32 v72, v48, v72                                // 000000007FBC: 0A909130
	v_mul_f32_e32 v73, v49, v73                                // 000000007FC0: 0A929331
	v_mul_f32_e32 v74, v50, v74                                // 000000007FC4: 0A949532
	v_mfma_f32_16x16x16_bf16 v[164:167], v[114:115], v[144:145], v[164:167]// 000000007FC8: D3E100A4 06932172
	v_mul_f32_e32 v75, v51, v75                                // 000000007FD0: 0A969733
	v_mul_f32_e32 v76, v52, v76                                // 000000007FD4: 0A989934
	v_mul_f32_e32 v77, v53, v77                                // 000000007FD8: 0A9A9B35
	v_mfma_f32_16x16x16_bf16 v[168:171], v[116:117], v[144:145], v[168:171]// 000000007FDC: D3E100A8 06A32174
	v_cmp_u_f32_e64 s[78:79], v72, v72                         // 000000007FE4: D048004E 00029148
	v_bfe_u32 v248, v72, 16, 1                                 // 000000007FEC: D1C800F8 02052148
	v_add3_u32 v248, v72, v248, v251                           // 000000007FF4: D1FF00F8 07EFF148
	v_cndmask_b32_e64 v28, v248, v250, s[78:79]                // 000000007FFC: D100001C 013BF5F8
	v_lshrrev_b32_e32 v28, 16, v28                             // 000000008004: 20383890
	v_cmp_u_f32_e64 s[78:79], v73, v73                         // 000000008008: D048004E 00029349
	v_bfe_u32 v248, v73, 16, 1                                 // 000000008010: D1C800F8 02052149
	v_add3_u32 v248, v73, v248, v251                           // 000000008018: D1FF00F8 07EFF149
	v_cndmask_b32_e64 v29, v248, v250, s[78:79]                // 000000008020: D100001D 013BF5F8
	v_and_or_b32 v72, v29, v249, v28                           // 000000008028: D2010048 0473F31D
	v_cmp_u_f32_e64 s[78:79], v74, v74                         // 000000008030: D048004E 0002954A
	v_bfe_u32 v248, v74, 16, 1                                 // 000000008038: D1C800F8 0205214A
	v_add3_u32 v248, v74, v248, v251                           // 000000008040: D1FF00F8 07EFF14A
	v_cndmask_b32_e64 v28, v248, v250, s[78:79]                // 000000008048: D100001C 013BF5F8
	v_lshrrev_b32_e32 v28, 16, v28                             // 000000008050: 20383890
	v_cmp_u_f32_e64 s[78:79], v75, v75                         // 000000008054: D048004E 0002974B
	v_bfe_u32 v248, v75, 16, 1                                 // 00000000805C: D1C800F8 0205214B
	v_add3_u32 v248, v75, v248, v251                           // 000000008064: D1FF00F8 07EFF14B
	v_cndmask_b32_e64 v29, v248, v250, s[78:79]                // 00000000806C: D100001D 013BF5F8
	v_and_or_b32 v73, v29, v249, v28                           // 000000008074: D2010049 0473F31D
	v_cmp_u_f32_e64 s[78:79], v76, v76                         // 00000000807C: D048004E 0002994C
	v_bfe_u32 v248, v76, 16, 1                                 // 000000008084: D1C800F8 0205214C
	v_add3_u32 v248, v76, v248, v251                           // 00000000808C: D1FF00F8 07EFF14C
	v_cndmask_b32_e64 v28, v248, v250, s[78:79]                // 000000008094: D100001C 013BF5F8
	v_lshrrev_b32_e32 v28, 16, v28                             // 00000000809C: 20383890
	v_cmp_u_f32_e64 s[78:79], v77, v77                         // 0000000080A0: D048004E 00029B4D
	v_bfe_u32 v248, v77, 16, 1                                 // 0000000080A8: D1C800F8 0205214D
	v_add3_u32 v248, v77, v248, v251                           // 0000000080B0: D1FF00F8 07EFF14D
	v_cndmask_b32_e64 v29, v248, v250, s[78:79]                // 0000000080B8: D100001D 013BF5F8
	v_and_or_b32 v74, v29, v249, v28                           // 0000000080C0: D201004A 0473F31D
	v_mfma_f32_16x16x16_bf16 v[172:175], v[118:119], v[144:145], v[172:175]// 0000000080C8: D3E100AC 06B32176
	v_mov_b32_dpp v16, v72 quad_perm:[1,0,3,2] row_mask:0xf bank_mask:0xf// 0000000080D0: 7E2002FA FF00B148
	v_perm_b32 v48, v16, v72, v15                              // 0000000080D8: D1ED0030 043E9110
	v_mov_b32_dpp v16, v73 quad_perm:[1,0,3,2] row_mask:0xf bank_mask:0xf// 0000000080E0: 7E2002FA FF00B149
	v_mfma_f32_16x16x16_bf16 v[176:179], v[120:121], v[144:145], v[176:179]// 0000000080E8: D3E100B0 06C32178
	v_perm_b32 v49, v16, v73, v15                              // 0000000080F0: D1ED0031 043E9310
	v_mov_b32_dpp v16, v74 quad_perm:[1,0,3,2] row_mask:0xf bank_mask:0xf// 0000000080F8: 7E2002FA FF00B14A
	v_perm_b32 v50, v16, v74, v15                              // 000000008100: D1ED0032 043E9510
	v_mfma_f32_16x16x16_bf16 v[180:183], v[122:123], v[144:145], v[180:183]// 000000008108: D3E100B4 06D3217A
	ds_write_b32 v18, v48 offset:17408                         // 000000008110: D81A4400 00003012
	v_mfma_f32_16x16x16_bf16 v[184:187], v[108:109], v[146:147], v[184:187]// 000000008118: D3E100B8 06E3256C
	v_subrev_f32_dpp v78, v150, v78 quad_perm:[2,2,2,2] row_mask:0xf bank_mask:0xf// 000000008120: 069C9CFA FF00AA96
	v_subrev_f32_dpp v79, v150, v79 quad_perm:[3,3,3,3] row_mask:0xf bank_mask:0xf// 000000008128: 069E9EFA FF00FF96
	v_subrev_f32_dpp v80, v150, v80 quad_perm:[0,0,0,0] row_mask:0xf bank_mask:0xf// 000000008130: 06A0A0FA FF000096
	v_mfma_f32_16x16x16_bf16 v[188:191], v[110:111], v[146:147], v[188:191]// 000000008138: D3E100BC 06F3256E
	ds_write_b32 v18, v49 offset:17952                         // 000000008140: D81A4620 00003112
	v_mfma_f32_16x16x16_bf16 v[192:195], v[112:113], v[146:147], v[192:195]// 000000008148: D3E100C0 07032570
	v_subrev_f32_dpp v81, v150, v81 quad_perm:[1,1,1,1] row_mask:0xf bank_mask:0xf// 000000008150: 06A2A2FA FF005596
	v_subrev_f32_dpp v82, v150, v82 quad_perm:[2,2,2,2] row_mask:0xf bank_mask:0xf// 000000008158: 06A4A4FA FF00AA96
	v_subrev_f32_dpp v83, v150, v83 quad_perm:[3,3,3,3] row_mask:0xf bank_mask:0xf// 000000008160: 06A6A6FA FF00FF96
	v_mfma_f32_16x16x16_bf16 v[196:199], v[114:115], v[146:147], v[196:199]// 000000008168: D3E100C4 07132572
	ds_write_b32 v18, v50 offset:19712                         // 000000008170: D81A4D00 00003212
	v_mfma_f32_16x16x16_bf16 v[200:203], v[116:117], v[146:147], v[200:203]// 000000008178: D3E100C8 07232574
	v_mul_f32_e32 v78, v54, v78                                // 000000008180: 0A9C9D36
	v_mul_f32_e32 v79, v55, v79                                // 000000008184: 0A9E9F37
	v_mul_f32_e32 v80, v56, v80                                // 000000008188: 0AA0A138
	v_mfma_f32_16x16x16_bf16 v[204:207], v[118:119], v[146:147], v[204:207]// 00000000818C: D3E100CC 07332576
	v_mul_f32_e32 v81, v57, v81                                // 000000008194: 0AA2A339
	v_mul_f32_e32 v82, v58, v82                                // 000000008198: 0AA4A53A
	v_mul_f32_e32 v83, v59, v83                                // 00000000819C: 0AA6A73B
	v_mfma_f32_16x16x16_bf16 v[208:211], v[120:121], v[146:147], v[208:211]// 0000000081A0: D3E100D0 07432578
	v_cmp_u_f32_e64 s[78:79], v78, v78                         // 0000000081A8: D048004E 00029D4E
	v_bfe_u32 v248, v78, 16, 1                                 // 0000000081B0: D1C800F8 0205214E
	v_add3_u32 v248, v78, v248, v251                           // 0000000081B8: D1FF00F8 07EFF14E
	v_cndmask_b32_e64 v28, v248, v250, s[78:79]                // 0000000081C0: D100001C 013BF5F8
	v_lshrrev_b32_e32 v28, 16, v28                             // 0000000081C8: 20383890
	v_cmp_u_f32_e64 s[78:79], v79, v79                         // 0000000081CC: D048004E 00029F4F
	v_bfe_u32 v248, v79, 16, 1                                 // 0000000081D4: D1C800F8 0205214F
	v_add3_u32 v248, v79, v248, v251                           // 0000000081DC: D1FF00F8 07EFF14F
	v_cndmask_b32_e64 v29, v248, v250, s[78:79]                // 0000000081E4: D100001D 013BF5F8
	v_and_or_b32 v75, v29, v249, v28                           // 0000000081EC: D201004B 0473F31D
	v_cmp_u_f32_e64 s[78:79], v80, v80                         // 0000000081F4: D048004E 0002A150
	v_bfe_u32 v248, v80, 16, 1                                 // 0000000081FC: D1C800F8 02052150
	v_add3_u32 v248, v80, v248, v251                           // 000000008204: D1FF00F8 07EFF150
	v_cndmask_b32_e64 v28, v248, v250, s[78:79]                // 00000000820C: D100001C 013BF5F8
	v_lshrrev_b32_e32 v28, 16, v28                             // 000000008214: 20383890
	v_cmp_u_f32_e64 s[78:79], v81, v81                         // 000000008218: D048004E 0002A351
	v_bfe_u32 v248, v81, 16, 1                                 // 000000008220: D1C800F8 02052151
	v_add3_u32 v248, v81, v248, v251                           // 000000008228: D1FF00F8 07EFF151
	v_cndmask_b32_e64 v29, v248, v250, s[78:79]                // 000000008230: D100001D 013BF5F8
	v_and_or_b32 v76, v29, v249, v28                           // 000000008238: D201004C 0473F31D
	v_cmp_u_f32_e64 s[78:79], v82, v82                         // 000000008240: D048004E 0002A552
	v_bfe_u32 v248, v82, 16, 1                                 // 000000008248: D1C800F8 02052152
	v_add3_u32 v248, v82, v248, v251                           // 000000008250: D1FF00F8 07EFF152
	v_cndmask_b32_e64 v28, v248, v250, s[78:79]                // 000000008258: D100001C 013BF5F8
	v_lshrrev_b32_e32 v28, 16, v28                             // 000000008260: 20383890
	v_cmp_u_f32_e64 s[78:79], v83, v83                         // 000000008264: D048004E 0002A753
	v_bfe_u32 v248, v83, 16, 1                                 // 00000000826C: D1C800F8 02052153
	v_add3_u32 v248, v83, v248, v251                           // 000000008274: D1FF00F8 07EFF153
	v_cndmask_b32_e64 v29, v248, v250, s[78:79]                // 00000000827C: D100001D 013BF5F8
	v_and_or_b32 v77, v29, v249, v28                           // 000000008284: D201004D 0473F31D
	v_mfma_f32_16x16x16_bf16 v[212:215], v[122:123], v[146:147], v[212:215]// 00000000828C: D3E100D4 0753257A
	v_mov_b32_dpp v16, v75 quad_perm:[1,0,3,2] row_mask:0xf bank_mask:0xf// 000000008294: 7E2002FA FF00B14B
	v_perm_b32 v51, v16, v75, v15                              // 00000000829C: D1ED0033 043E9710
	v_mov_b32_dpp v16, v76 quad_perm:[1,0,3,2] row_mask:0xf bank_mask:0xf// 0000000082A4: 7E2002FA FF00B14C
	v_mfma_f32_16x16x16_bf16 v[216:219], v[108:109], v[148:149], v[216:219]// 0000000082AC: D3E100D8 0763296C
	v_perm_b32 v52, v16, v76, v15                              // 0000000082B4: D1ED0034 043E9910
	v_mov_b32_dpp v16, v77 quad_perm:[1,0,3,2] row_mask:0xf bank_mask:0xf// 0000000082BC: 7E2002FA FF00B14D
	v_perm_b32 v53, v16, v77, v15                              // 0000000082C4: D1ED0035 043E9B10
	v_mfma_f32_16x16x16_bf16 v[220:223], v[110:111], v[148:149], v[220:223]// 0000000082CC: D3E100DC 0773296E
	ds_write_b32 v18, v51 offset:20256                         // 0000000082D4: D81A4F20 00003312
	v_mfma_f32_16x16x16_bf16 v[224:227], v[112:113], v[148:149], v[224:227]// 0000000082DC: D3E100E0 07832970
	v_mfma_f32_16x16x16_bf16 v[228:231], v[114:115], v[148:149], v[228:231]// 0000000082E4: D3E100E4 07932972
	ds_write_b32 v18, v52 offset:22016                         // 0000000082EC: D81A5600 00003412
	ds_write_b32 v18, v53 offset:22560                         // 0000000082F4: D81A5820 00003512
	v_mfma_f32_16x16x16_bf16 v[232:235], v[116:117], v[148:149], v[232:235]// 0000000082FC: D3E100E8 07A32974
	v_mfma_f32_16x16x16_bf16 v[236:239], v[118:119], v[148:149], v[236:239]// 000000008304: D3E100EC 07B32976
	ds_write_b32 v13, v84 offset:4352                          // 00000000830C: D81A1100 0000540D
	ds_write_b32 v13, v85 offset:5408                          // 000000008314: D81A1520 0000550D
	v_mfma_f32_16x16x16_bf16 v[240:243], v[120:121], v[148:149], v[240:243]// 00000000831C: D3E100F0 07C32978
	s_nop 0                                                    // 000000008324: BF800000
	s_nop 0                                                    // 000000008328: BF800000
	s_nop 0                                                    // 00000000832C: BF800000
	v_mfma_f32_16x16x16_bf16 v[244:247], v[122:123], v[148:149], v[244:247]// 000000008330: D3E100F4 07D3297A
	ds_write_b32 v13, v86 offset:4480                          // 000000008338: D81A1180 0000560D
	ds_write_b32 v13, v87 offset:5536                          // 000000008340: D81A15A0 0000570D
	s_barrier                                                  // 000000008348: BF8A0000
	v_mfma_f32_16x16x16_bf16 a[160:163], a[144:145], v[72:73], a[160:163]// 00000000834C: D3E180A0 0E829190
	buffer_atomic_add_f32 v136, v7, s[32:35], 0 offen          // 000000008354: E1341000 80088807
	v_mfma_f32_16x16x16_bf16 a[164:167], a[146:147], v[72:73], a[164:167]// 00000000835C: D3E180A4 0E929192
	ds_read_b32 v124, v21 offset:50688                         // 000000008364: D86CC600 7C000015
	ds_read_b32 v150, v21 offset:50944                         // 00000000836C: D86CC700 96000015
	v_mfma_f32_16x16x16_bf16 a[168:171], a[148:149], v[72:73], a[168:171]// 000000008374: D3E180A8 0EA29194
	s_waitcnt lgkmcnt(6)                                       // 00000000837C: BF8CC67F
	s_barrier                                                  // 000000008380: BF8A0000
	v_mfma_f32_16x16x16_bf16 a[172:175], a[150:151], v[72:73], a[172:175]// 000000008384: D3E180AC 0EB29196
	ds_read_b128 v[48:51], v17 offset:17408                    // 00000000838C: D9FE4400 30000011
	v_mfma_f32_16x16x16_bf16 a[176:179], a[152:153], v[72:73], a[176:179]// 000000008394: D3E180B0 0EC29198
	v_mfma_f32_16x16x16_bf16 a[180:183], a[154:155], v[72:73], a[180:183]// 00000000839C: D3E180B4 0ED2919A
	ds_read_b128 v[52:55], v17 offset:18560                    // 0000000083A4: D9FE4880 34000011
	v_mfma_f32_16x16x16_bf16 a[184:187], a[156:157], v[72:73], a[184:187]// 0000000083AC: D3E180B8 0EE2919C
	buffer_atomic_add_f32 v137, v8, s[32:35], 0 offen          // 0000000083B4: E1341000 80088908
	v_mfma_f32_16x16x16_bf16 a[188:191], a[158:159], v[72:73], a[188:191]// 0000000083BC: D3E180BC 0EF2919E
	ds_read_b128 v[56:59], v17 offset:19712                    // 0000000083C4: D9FE4D00 38000011
	v_mfma_f32_16x16x16_bf16 a[192:195], a[144:145], v[74:75], a[192:195]// 0000000083CC: D3E180C0 0F029590
	v_mfma_f32_16x16x16_bf16 a[196:199], a[146:147], v[74:75], a[196:199]// 0000000083D4: D3E180C4 0F129592
	ds_read_b128 v[60:63], v17 offset:20864                    // 0000000083DC: D9FE5180 3C000011
	v_mfma_f32_16x16x16_bf16 a[200:203], a[148:149], v[74:75], a[200:203]// 0000000083E4: D3E180C8 0F229594
	v_mfma_f32_16x16x16_bf16 a[204:207], a[150:151], v[74:75], a[204:207]// 0000000083EC: D3E180CC 0F329596
	ds_read_b128 v[64:67], v17 offset:22016                    // 0000000083F4: D9FE5600 40000011
	v_mfma_f32_16x16x16_bf16 a[208:211], a[152:153], v[74:75], a[208:211]// 0000000083FC: D3E180D0 0F429598
	buffer_atomic_add_f32 v138, v7, s[32:35], 0 offen offset:128// 000000008404: E1341080 80088A07
	v_mfma_f32_16x16x16_bf16 a[212:215], a[154:155], v[74:75], a[212:215]// 00000000840C: D3E180D4 0F52959A
	ds_read_b128 v[68:71], v17 offset:23168                    // 000000008414: D9FE5A80 44000011
	v_mfma_f32_16x16x16_bf16 a[216:219], a[156:157], v[74:75], a[216:219]// 00000000841C: D3E180D8 0F62959C
	v_mfma_f32_16x16x16_bf16 a[220:223], a[158:159], v[74:75], a[220:223]// 000000008424: D3E180DC 0F72959E
	ds_write_b32 v13, v88 offset:13056                         // 00000000842C: D81A3300 0000580D
	v_mfma_f32_16x16x16_bf16 a[224:227], a[144:145], v[76:77], a[224:227]// 000000008434: D3E180E0 0F829990
	v_mfma_f32_16x16x16_bf16 a[228:231], a[146:147], v[76:77], a[228:231]// 00000000843C: D3E180E4 0F929992
	ds_write_b32 v13, v89 offset:14112                         // 000000008444: D81A3720 0000590D
	v_mfma_f32_16x16x16_bf16 a[232:235], a[148:149], v[76:77], a[232:235]// 00000000844C: D3E180E8 0FA29994
	buffer_atomic_add_f32 v139, v8, s[32:35], 0 offen offset:128// 000000008454: E1341080 80088B08
	v_mfma_f32_16x16x16_bf16 a[236:239], a[150:151], v[76:77], a[236:239]// 00000000845C: D3E180EC 0FB29996
	ds_write_b32 v13, v90 offset:13184                         // 000000008464: D81A3380 00005A0D
	v_mfma_f32_16x16x16_bf16 a[240:243], a[152:153], v[76:77], a[240:243]// 00000000846C: D3E180F0 0FC29998
	v_mfma_f32_16x16x16_bf16 a[244:247], a[154:155], v[76:77], a[244:247]// 000000008474: D3E180F4 0FD2999A
	ds_write_b32 v13, v91 offset:14240                         // 00000000847C: D81A37A0 00005B0D
	v_mfma_f32_16x16x16_bf16 a[248:251], a[156:157], v[76:77], a[248:251]// 000000008484: D3E180F8 0FE2999C
	v_mfma_f32_16x16x16_bf16 a[252:255], a[158:159], v[76:77], a[252:255]// 00000000848C: D3E180FC 0FF2999E
	s_waitcnt vmcnt(8) lgkmcnt(4)                              // 000000008494: BF8C0478
	s_barrier                                                  // 000000008498: BF8A0000
	v_mfma_f32_16x16x16_bf16 v[128:131], v[48:49], a[48:49], 0 // 00000000849C: D3E10080 12026130
	v_mul_f32_e32 v124, s48, v124                              // 0000000084A4: 0AF8F830
	s_nop 0                                                    // 0000000084A8: BF800000
	v_mfma_f32_16x16x16_bf16 v[128:131], v[50:51], a[52:53], v[128:131]// 0000000084AC: D3E10080 16026932
	ds_read_b128 a[144:147], v10                               // 0000000084B4: DBFE0000 9000000A
	v_mov_b32_e32 v32, 0                                       // 0000000084BC: 7E400280
	s_mov_b64 exec, s[90:91]                                   // 0000000084C0: BEFE015A
	buffer_load_dword v32, v1, s[8:11], 0 idxen                // 0000000084C4: E0502000 80022001
	s_mov_b32 exec_lo, -1                                      // 0000000084CC: BEFE00C1
	s_mov_b32 exec_hi, -1                                      // 0000000084D0: BEFF00C1
	v_mfma_f32_16x16x16_bf16 v[128:131], v[52:53], a[56:57], v[128:131]// 0000000084D4: D3E10080 16027134
	v_mfma_f32_16x16x16_bf16 v[128:131], v[54:55], a[60:61], v[128:131]// 0000000084DC: D3E10080 16027936
	ds_read_b128 a[148:151], v10 offset:512                    // 0000000084E4: DBFE0200 9400000A
	v_mov_b32_e32 v33, 0                                       // 0000000084EC: 7E420280
	s_mov_b64 exec, s[90:91]                                   // 0000000084F0: BEFE015A
	buffer_load_dword v33, v2, s[8:11], 0 idxen                // 0000000084F4: E0502000 80022102
	s_mov_b32 exec_lo, -1                                      // 0000000084FC: BEFE00C1
	s_mov_b32 exec_hi, -1                                      // 000000008500: BEFF00C1
	v_mfma_f32_16x16x16_bf16 v[128:131], v[56:57], a[64:65], v[128:131]// 000000008504: D3E10080 16028138
	v_perm_b32 v84, v37, v36, s63                              // 00000000850C: D1ED0054 00FE4925
	v_perm_b32 v85, v37, v36, s64                              // 000000008514: D1ED0055 01024925
	v_mfma_f32_16x16x16_bf16 v[128:131], v[58:59], a[68:69], v[128:131]// 00000000851C: D3E10080 1602893A
	ds_read_b128 a[152:155], v10 offset:2176                   // 000000008524: DBFE0880 9800000A
	v_mov_b32_e32 v34, 0                                       // 00000000852C: 7E440280
	s_mov_b64 exec, s[90:91]                                   // 000000008530: BEFE015A
	buffer_load_dword v34, v3, s[8:11], 0 idxen                // 000000008534: E0502000 80022203
	s_mov_b32 exec_lo, -1                                      // 00000000853C: BEFE00C1
	s_mov_b32 exec_hi, -1                                      // 000000008540: BEFF00C1
	v_mfma_f32_16x16x16_bf16 v[128:131], v[60:61], a[72:73], v[128:131]// 000000008544: D3E10080 1602913C
	v_perm_b32 v86, v39, v38, s63                              // 00000000854C: D1ED0056 00FE4D27
	v_perm_b32 v87, v39, v38, s64                              // 000000008554: D1ED0057 01024D27
	v_mfma_f32_16x16x16_bf16 v[128:131], v[62:63], a[76:77], v[128:131]// 00000000855C: D3E10080 1602993E
	ds_read_b128 a[156:159], v10 offset:2688                   // 000000008564: DBFE0A80 9C00000A
	v_mov_b32_e32 v35, 0                                       // 00000000856C: 7E460280
	s_mov_b64 exec, s[90:91]                                   // 000000008570: BEFE015A
	buffer_load_dword v35, v4, s[8:11], 0 idxen                // 000000008574: E0502000 80022304
	s_mov_b32 exec_lo, -1                                      // 00000000857C: BEFE00C1
	s_mov_b32 exec_hi, -1                                      // 000000008580: BEFF00C1
	v_mfma_f32_16x16x16_bf16 v[128:131], v[64:65], a[80:81], v[128:131]// 000000008584: D3E10080 1602A140
	v_perm_b32 v88, v45, v44, s63                              // 00000000858C: D1ED0058 00FE592D
	v_perm_b32 v89, v45, v44, s64                              // 000000008594: D1ED0059 0102592D
	v_mfma_f32_16x16x16_bf16 v[128:131], v[66:67], a[84:85], v[128:131]// 00000000859C: D3E10080 1602A942
	ds_read_b128 v[92:95], v10 offset:8704                     // 0000000085A4: D9FE2200 5C00000A
	v_mov_b32_e32 v40, 0                                       // 0000000085AC: 7E500280
	s_mov_b64 exec, s[90:91]                                   // 0000000085B0: BEFE015A
	buffer_load_dword v40, v252, s[20:23], 0 idxen             // 0000000085B4: E0502000 800528FC
	s_mov_b32 exec_lo, -1                                      // 0000000085BC: BEFE00C1
	s_mov_b32 exec_hi, -1                                      // 0000000085C0: BEFF00C1
	v_mfma_f32_16x16x16_bf16 v[128:131], v[68:69], a[88:89], v[128:131]// 0000000085C4: D3E10080 1602B144
	v_perm_b32 v90, v47, v46, s63                              // 0000000085CC: D1ED005A 00FE5D2F
	v_perm_b32 v91, v47, v46, s64                              // 0000000085D4: D1ED005B 01025D2F
	v_mfma_f32_16x16x16_bf16 v[128:131], v[70:71], a[92:93], v[128:131]// 0000000085DC: D3E10080 1602B946
	ds_read_b128 v[96:99], v10 offset:9216                     // 0000000085E4: D9FE2400 6000000A
	v_mov_b32_e32 v41, 0                                       // 0000000085EC: 7E520280
	s_mov_b64 exec, s[90:91]                                   // 0000000085F0: BEFE015A
	buffer_load_dword v41, v253, s[20:23], 0 idxen             // 0000000085F4: E0502000 800529FD
	s_mov_b32 exec_lo, -1                                      // 0000000085FC: BEFE00C1
	s_mov_b32 exec_hi, -1                                      // 000000008600: BEFF00C1
	v_mfma_f32_16x16x16_bf16 v[132:135], v[48:49], a[50:51], 0 // 000000008604: D3E10084 12026530
	v_mov_b32_dpp v127, v124 quad_perm:[3,3,3,3] row_mask:0xf bank_mask:0xf// 00000000860C: 7EFE02FA FF00FF7C
	v_mov_b32_dpp v126, v124 quad_perm:[2,2,2,2] row_mask:0xf bank_mask:0xf// 000000008614: 7EFC02FA FF00AA7C
	v_mfma_f32_16x16x16_bf16 v[132:135], v[50:51], a[54:55], v[132:135]// 00000000861C: D3E10084 16126D32
	ds_read_b128 v[100:103], v10 offset:10880                  // 000000008624: D9FE2A80 6400000A
	v_mov_b32_e32 v42, 0                                       // 00000000862C: 7E540280
	s_mov_b64 exec, s[90:91]                                   // 000000008630: BEFE015A
	buffer_load_dword v42, v254, s[20:23], 0 idxen             // 000000008634: E0502000 80052AFE
	s_mov_b32 exec_lo, -1                                      // 00000000863C: BEFE00C1
	s_mov_b32 exec_hi, -1                                      // 000000008640: BEFF00C1
	v_mfma_f32_16x16x16_bf16 v[132:135], v[52:53], a[58:59], v[132:135]// 000000008644: D3E10084 16127534
	v_mov_b32_dpp v125, v124 quad_perm:[1,1,1,1] row_mask:0xf bank_mask:0xf// 00000000864C: 7EFA02FA FF00557C
	v_mov_b32_dpp v124, v124 quad_perm:[0,0,0,0] row_mask:0xf bank_mask:0xf// 000000008654: 7EF802FA FF00007C
	s_add_u32 s60, 64, s59                                     // 00000000865C: 803C3BC0
	v_mfma_f32_16x16x16_bf16 v[132:135], v[54:55], a[62:63], v[132:135]// 000000008660: D3E10084 16127D36
	ds_read_b128 v[104:107], v10 offset:11392                  // 000000008668: D9FE2C80 6800000A
	v_mov_b32_e32 v43, 0                                       // 000000008670: 7E560280
	s_mov_b64 exec, s[90:91]                                   // 000000008674: BEFE015A
	buffer_load_dword v43, v255, s[20:23], 0 idxen             // 000000008678: E0502000 80052BFF
	s_mov_b32 exec_lo, -1                                      // 000000008680: BEFE00C1
	s_mov_b32 exec_hi, -1                                      // 000000008684: BEFF00C1
	v_mfma_f32_16x16x16_bf16 v[132:135], v[56:57], a[66:67], v[132:135]// 000000008688: D3E10084 16128538
	s_cmp_lt_u32 s60, s58                                      // 000000008690: BF0A3A3C
	s_cselect_b32 s68, s68, 0                                  // 000000008694: 85448044
	s_cselect_b32 s99, s99, 0                                  // 000000008698: 85638063
	s_cselect_b32 s69, s69, 0                                  // 00000000869C: 85458045
	v_mfma_f32_16x16x16_bf16 v[132:135], v[58:59], a[70:71], v[132:135]// 0000000086A0: D3E10084 16128D3A
	buffer_load_dword v9, s[24:27], 0 idxen lds                // 0000000086A8: E0512000 80060009
	v_mfma_f32_16x16x16_bf16 v[132:135], v[60:61], a[74:75], v[132:135]// 0000000086B0: D3E10084 1612953C
	v_add_u32_e32 v1, s68, v1                                  // 0000000086B8: 68020244
	v_add_u32_e32 v2, s68, v2                                  // 0000000086BC: 68040444
	v_add_u32_e32 v3, s68, v3                                  // 0000000086C0: 68060644
	v_add_u32_e32 v4, s68, v4                                  // 0000000086C4: 68080844
	v_mfma_f32_16x16x16_bf16 v[132:135], v[62:63], a[78:79], v[132:135]// 0000000086C8: D3E10084 16129D3E
	v_add_u32_e32 v252, s99, v252                              // 0000000086D0: 69F9F863
	v_add_u32_e32 v253, s99, v253                              // 0000000086D4: 69FBFA63
	v_add_u32_e32 v254, s99, v254                              // 0000000086D8: 69FDFC63
	v_add_u32_e32 v255, s99, v255                              // 0000000086DC: 69FFFE63
	v_mfma_f32_16x16x16_bf16 v[132:135], v[64:65], a[82:83], v[132:135]// 0000000086E0: D3E10084 1612A540
	s_mov_b32 m0, s81                                          // 0000000086E8: BEFC0051
	v_add_u32_e32 v9, s69, v9                                  // 0000000086EC: 68121245
	v_mfma_f32_16x16x16_bf16 v[132:135], v[66:67], a[86:87], v[132:135]// 0000000086F0: D3E10084 1612AD42
	s_cmp_ge_u32 s59, s73                                      // 0000000086F8: BF09493B
	s_cselect_b32 s66, s67, s66                                // 0000000086FC: 85424243
	v_mfma_f32_16x16x16_bf16 v[132:135], v[68:69], a[90:91], v[132:135]// 000000008700: D3E10084 1612B544
	s_addk_i32 s59, 0x10                                       // 000000008708: B73B0010
	s_nop 0                                                    // 00000000870C: BF800000
	s_cmp_lt_i32 s59, s58                                      // 000000008710: BF043A3B
	v_mfma_f32_16x16x16_bf16 v[132:135], v[70:71], a[94:95], v[132:135]// 000000008714: D3E10084 1612BD46
	s_cbranch_scc0 label_1253                                  // 00000000871C: BF840001
	s_branch label_0A66                                        // 000000008720: BF82F81D

0000000000008724 <label_1253>:
	s_nop 0                                                    // 000000008724: BF800000
	s_nop 0                                                    // 000000008728: BF800000
	s_branch label_1A43                                        // 00000000872C: BF8207E3

0000000000008730 <label_1256>:
	s_waitcnt lgkmcnt(0)                                       // 000000008730: BF8CC07F
	s_barrier                                                  // 000000008734: BF8A0000
	v_mfma_f32_16x16x16_bf16 v[48:51], a[144:145], a[0:1], 0   // 000000008738: D3E10030 1A020190
	v_mul_f32_e32 v128, s47, v128                              // 000000008740: 0B01002F
	v_mul_f32_e32 v129, s47, v129                              // 000000008744: 0B03022F
	v_mfma_f32_16x16x16_bf16 v[48:51], a[146:147], a[2:3], v[48:51]// 000000008748: D3E10030 1CC20592
	ds_write_b32 v11, v44 offset:8704                          // 000000008750: D81A2200 00002C0B
	ds_write_b32 v11, v45 offset:9760                          // 000000008758: D81A2620 00002D0B
	v_mfma_f32_16x16x16_bf16 v[48:51], a[148:149], a[4:5], v[48:51]// 000000008760: D3E10030 1CC20994
	v_mul_f32_e32 v130, s47, v130                              // 000000008768: 0B05042F
	v_mul_f32_e32 v131, s47, v131                              // 00000000876C: 0B07062F
	v_mfma_f32_16x16x16_bf16 v[48:51], a[150:151], a[6:7], v[48:51]// 000000008770: D3E10030 1CC20D96
	ds_write_b32 v11, v46 offset:8832                          // 000000008778: D81A2280 00002E0B
	ds_write_b32 v11, v47 offset:9888                          // 000000008780: D81A26A0 00002F0B
	v_mfma_f32_16x16x16_bf16 v[48:51], a[152:153], a[8:9], v[48:51]// 000000008788: D3E10030 1CC21198
	v_mul_f32_e32 v132, s47, v132                              // 000000008790: 0B09082F
	v_mul_f32_e32 v133, s47, v133                              // 000000008794: 0B0B0A2F
	v_mfma_f32_16x16x16_bf16 v[48:51], a[154:155], a[10:11], v[48:51]// 000000008798: D3E10030 1CC2159A
	ds_write_b64 v20, v[128:129] offset:24320                  // 0000000087A0: D89A5F00 00008014
	v_mfma_f32_16x16x16_bf16 v[48:51], a[156:157], a[12:13], v[48:51]// 0000000087A8: D3E10030 1CC2199C
	v_mul_f32_e32 v134, s47, v134                              // 0000000087B0: 0B0D0C2F
	v_mul_f32_e32 v135, s47, v135                              // 0000000087B4: 0B0F0E2F
	v_mfma_f32_16x16x16_bf16 v[48:51], a[158:159], a[14:15], v[48:51]// 0000000087B8: D3E10030 1CC21D9E
	ds_write_b64 v20, v[130:131] offset:24832                  // 0000000087C0: D89A6100 00008214
	v_mfma_f32_16x16x16_bf16 v[52:55], a[144:145], a[16:17], 0 // 0000000087C8: D3E10034 1A022190
	buffer_atomic_add_f32 v140, v7, s[32:35], 0 offen offset:256// 0000000087D0: E1341100 80088C07
	v_mfma_f32_16x16x16_bf16 v[52:55], a[146:147], a[18:19], v[52:55]// 0000000087D8: D3E10034 1CD22592
	ds_write_b64 v20, v[132:133] offset:25344                  // 0000000087E0: D89A6300 00008414
	v_mfma_f32_16x16x16_bf16 v[52:55], a[148:149], a[20:21], v[52:55]// 0000000087E8: D3E10034 1CD22994
	v_mfma_f32_16x16x16_bf16 v[52:55], a[150:151], a[22:23], v[52:55]// 0000000087F0: D3E10034 1CD22D96
	ds_write_b64 v20, v[134:135] offset:25856                  // 0000000087F8: D89A6500 00008614
	v_mfma_f32_16x16x16_bf16 v[52:55], a[152:153], a[24:25], v[52:55]// 000000008800: D3E10034 1CD23198
	buffer_atomic_add_f32 v141, v8, s[32:35], 0 offen offset:256// 000000008808: E1341100 80088D08
	v_mfma_f32_16x16x16_bf16 v[52:55], a[154:155], a[26:27], v[52:55]// 000000008810: D3E10034 1CD2359A
	ds_read_b128 v[108:111], v12 offset:13056                  // 000000008818: D9FE3300 6C00000C
	ds_write_b32 v11, v36                                      // 000000008820: D81A0000 0000240B
	v_mfma_f32_16x16x16_bf16 v[52:55], a[156:157], a[28:29], v[52:55]// 000000008828: D3E10034 1CD2399C
	v_mfma_f32_16x16x16_bf16 v[52:55], a[158:159], a[30:31], v[52:55]// 000000008830: D3E10034 1CD23D9E
	v_mfma_f32_16x16x16_bf16 v[56:59], a[144:145], a[32:33], 0 // 000000008838: D3E10038 1A024190
	ds_read_b128 v[112:115], v12 offset:13568                  // 000000008840: D9FE3500 7000000C
	ds_write_b32 v11, v37 offset:1056                          // 000000008848: D81A0420 0000250B
	v_mfma_f32_16x16x16_bf16 v[56:59], a[146:147], a[34:35], v[56:59]// 000000008850: D3E10038 1CE24592
	buffer_atomic_add_f32 v142, v7, s[32:35], 0 offen offset:384// 000000008858: E1341180 80088E07
	v_mfma_f32_16x16x16_bf16 v[56:59], a[148:149], a[36:37], v[56:59]// 000000008860: D3E10038 1CE24994
	v_mfma_f32_16x16x16_bf16 v[56:59], a[150:151], a[38:39], v[56:59]// 000000008868: D3E10038 1CE24D96
	ds_read_b128 v[116:119], v12 offset:15232                  // 000000008870: D9FE3B80 7400000C
	ds_write_b32 v11, v38 offset:128                           // 000000008878: D81A0080 0000260B
	v_mfma_f32_16x16x16_bf16 v[56:59], a[152:153], a[40:41], v[56:59]// 000000008880: D3E10038 1CE25198
	v_mfma_f32_16x16x16_bf16 v[56:59], a[154:155], a[42:43], v[56:59]// 000000008888: D3E10038 1CE2559A
	buffer_atomic_add_f32 v143, v8, s[32:35], 0 offen offset:384// 000000008890: E1341180 80088F08
	v_mfma_f32_16x16x16_bf16 v[56:59], a[156:157], a[44:45], v[56:59]// 000000008898: D3E10038 1CE2599C
	ds_read_b128 v[120:123], v12 offset:15744                  // 0000000088A0: D9FE3D80 7800000C
	ds_write_b32 v11, v39 offset:1184                          // 0000000088A8: D81A04A0 0000270B
	v_mfma_f32_16x16x16_bf16 v[56:59], a[158:159], a[46:47], v[56:59]// 0000000088B0: D3E10038 1CE25D9E
	s_cmp_lt_i32 s74, 12                                       // 0000000088B8: BF048C4A
	s_cbranch_scc0 label_132F                                  // 0000000088BC: BF840075
	s_mov_b32 s60, 0xffe0fffe                                  // 0000000088C0: BEBC00FF FFE0FFFE
	s_mov_b32 s61, 0xe000fe00                                  // 0000000088C8: BEBD00FF E000FE00
	s_nop 0                                                    // 0000000088D0: BF800000
	s_add_u32 s62, 0, s46                                      // 0000000088D4: 803E2E80
	s_cmp_lt_i32 s74, s62                                      // 0000000088D8: BF043E4A
	s_cbranch_scc1 label_12EA                                  // 0000000088DC: BF850028
	s_cmp_eq_i32 s74, s62                                      // 0000000088E0: BF003E4A
	s_cbranch_scc1 label_12CF                                  // 0000000088E4: BF85000B
	s_add_u32 s62, 4, s46                                      // 0000000088E8: 803E2E84
	s_cmp_lt_i32 s74, s62                                      // 0000000088EC: BF043E4A
	s_cbranch_scc1 label_130A                                  // 0000000088F0: BF850043
	s_cmp_eq_i32 s74, s62                                      // 0000000088F4: BF003E4A
	s_cbranch_scc1 label_12EF                                  // 0000000088F8: BF850026
	s_add_u32 s62, 8, s46                                      // 0000000088FC: 803E2E88
	s_cmp_lt_i32 s74, s62                                      // 000000008900: BF043E4A
	s_cbranch_scc1 label_132A                                  // 000000008904: BF85005E
	s_cmp_eq_i32 s74, s62                                      // 000000008908: BF003E4A
	s_cbranch_scc1 label_130F                                  // 00000000890C: BF850041
	s_branch label_132F                                        // 000000008910: BF820060

0000000000008914 <label_12CF>:
	v_cndmask_b32_e64 v48, v48, v151, s[60:61]                 // 000000008914: D1000030 00F32F30
	s_lshl_b32 s60, s60, 1                                     // 00000000891C: 8E3C813C
	s_lshl_b32 s61, s61, 1                                     // 000000008920: 8E3D813D
	s_and_b32 s60, 0xfffeffff, s60                             // 000000008924: 863C3CFF FFFEFFFF
	s_and_b32 s61, 0xfffeffff, s61                             // 00000000892C: 863D3DFF FFFEFFFF
	v_cndmask_b32_e64 v49, v49, v151, s[60:61]                 // 000000008934: D1000031 00F32F31
	s_lshl_b32 s60, s60, 1                                     // 00000000893C: 8E3C813C
	s_lshl_b32 s61, s61, 1                                     // 000000008940: 8E3D813D
	s_and_b32 s60, 0xfffeffff, s60                             // 000000008944: 863C3CFF FFFEFFFF
	s_and_b32 s61, 0xfffeffff, s61                             // 00000000894C: 863D3DFF FFFEFFFF
	v_cndmask_b32_e64 v50, v50, v151, s[60:61]                 // 000000008954: D1000032 00F32F32
	s_lshl_b32 s60, s60, 1                                     // 00000000895C: 8E3C813C
	s_lshl_b32 s61, s61, 1                                     // 000000008960: 8E3D813D
	s_and_b32 s60, 0xfffeffff, s60                             // 000000008964: 863C3CFF FFFEFFFF
	s_and_b32 s61, 0xfffeffff, s61                             // 00000000896C: 863D3DFF FFFEFFFF
	v_cndmask_b32_e64 v51, v51, v151, s[60:61]                 // 000000008974: D1000033 00F32F33
	s_branch label_130A                                        // 00000000897C: BF820020

0000000000008980 <label_12EA>:
	v_mov_b32_e32 v48, v151                                    // 000000008980: 7E600397
	v_mov_b32_e32 v49, v151                                    // 000000008984: 7E620397
	v_mov_b32_e32 v50, v151                                    // 000000008988: 7E640397
	v_mov_b32_e32 v51, v151                                    // 00000000898C: 7E660397
	s_branch label_130A                                        // 000000008990: BF82001B

0000000000008994 <label_12EF>:
	v_cndmask_b32_e64 v52, v52, v151, s[60:61]                 // 000000008994: D1000034 00F32F34
	s_lshl_b32 s60, s60, 1                                     // 00000000899C: 8E3C813C
	s_lshl_b32 s61, s61, 1                                     // 0000000089A0: 8E3D813D
	s_and_b32 s60, 0xfffeffff, s60                             // 0000000089A4: 863C3CFF FFFEFFFF
	s_and_b32 s61, 0xfffeffff, s61                             // 0000000089AC: 863D3DFF FFFEFFFF
	v_cndmask_b32_e64 v53, v53, v151, s[60:61]                 // 0000000089B4: D1000035 00F32F35
	s_lshl_b32 s60, s60, 1                                     // 0000000089BC: 8E3C813C
	s_lshl_b32 s61, s61, 1                                     // 0000000089C0: 8E3D813D
	s_and_b32 s60, 0xfffeffff, s60                             // 0000000089C4: 863C3CFF FFFEFFFF
	s_and_b32 s61, 0xfffeffff, s61                             // 0000000089CC: 863D3DFF FFFEFFFF
	v_cndmask_b32_e64 v54, v54, v151, s[60:61]                 // 0000000089D4: D1000036 00F32F36
	s_lshl_b32 s60, s60, 1                                     // 0000000089DC: 8E3C813C
	s_lshl_b32 s61, s61, 1                                     // 0000000089E0: 8E3D813D
	s_and_b32 s60, 0xfffeffff, s60                             // 0000000089E4: 863C3CFF FFFEFFFF
	s_and_b32 s61, 0xfffeffff, s61                             // 0000000089EC: 863D3DFF FFFEFFFF
	v_cndmask_b32_e64 v55, v55, v151, s[60:61]                 // 0000000089F4: D1000037 00F32F37
	s_branch label_132A                                        // 0000000089FC: BF820020

0000000000008a00 <label_130A>:
	v_mov_b32_e32 v52, v151                                    // 000000008A00: 7E680397
	v_mov_b32_e32 v53, v151                                    // 000000008A04: 7E6A0397
	v_mov_b32_e32 v54, v151                                    // 000000008A08: 7E6C0397
	v_mov_b32_e32 v55, v151                                    // 000000008A0C: 7E6E0397
	s_branch label_132A                                        // 000000008A10: BF82001B

0000000000008a14 <label_130F>:
	v_cndmask_b32_e64 v56, v56, v151, s[60:61]                 // 000000008A14: D1000038 00F32F38
	s_lshl_b32 s60, s60, 1                                     // 000000008A1C: 8E3C813C
	s_lshl_b32 s61, s61, 1                                     // 000000008A20: 8E3D813D
	s_and_b32 s60, 0xfffeffff, s60                             // 000000008A24: 863C3CFF FFFEFFFF
	s_and_b32 s61, 0xfffeffff, s61                             // 000000008A2C: 863D3DFF FFFEFFFF
	v_cndmask_b32_e64 v57, v57, v151, s[60:61]                 // 000000008A34: D1000039 00F32F39
	s_lshl_b32 s60, s60, 1                                     // 000000008A3C: 8E3C813C
	s_lshl_b32 s61, s61, 1                                     // 000000008A40: 8E3D813D
	s_and_b32 s60, 0xfffeffff, s60                             // 000000008A44: 863C3CFF FFFEFFFF
	s_and_b32 s61, 0xfffeffff, s61                             // 000000008A4C: 863D3DFF FFFEFFFF
	v_cndmask_b32_e64 v58, v58, v151, s[60:61]                 // 000000008A54: D100003A 00F32F3A
	s_lshl_b32 s60, s60, 1                                     // 000000008A5C: 8E3C813C
	s_lshl_b32 s61, s61, 1                                     // 000000008A60: 8E3D813D
	s_and_b32 s60, 0xfffeffff, s60                             // 000000008A64: 863C3CFF FFFEFFFF
	s_and_b32 s61, 0xfffeffff, s61                             // 000000008A6C: 863D3DFF FFFEFFFF
	v_cndmask_b32_e64 v59, v59, v151, s[60:61]                 // 000000008A74: D100003B 00F32F3B
	s_branch label_132F                                        // 000000008A7C: BF820005

0000000000008a80 <label_132A>:
	v_mov_b32_e32 v56, v151                                    // 000000008A80: 7E700397
	v_mov_b32_e32 v57, v151                                    // 000000008A84: 7E720397
	v_mov_b32_e32 v58, v151                                    // 000000008A88: 7E740397
	v_mov_b32_e32 v59, v151                                    // 000000008A8C: 7E760397
	s_branch label_132F                                        // 000000008A90: BF820000

0000000000008a94 <label_132F>:
	s_cmp_lt_i32 s100, 0xc0                                    // 000000008A94: BF04FF64 000000C0
	s_cbranch_scc0 label_1384                                  // 000000008A9C: BF84004D
	s_cmp_le_i32 s100, 64                                      // 000000008AA0: BF05C064
	s_cbranch_scc1 label_133B                                  // 000000008AA4: BF850007
	s_cmp_le_i32 s100, 0x80                                    // 000000008AA8: BF05FF64 00000080
	s_cbranch_scc1 label_1353                                  // 000000008AB0: BF850017
	s_cmp_lt_i32 s100, 0xc0                                    // 000000008AB4: BF04FF64 000000C0
	s_cbranch_scc1 label_136B                                  // 000000008ABC: BF85002C
	s_branch label_1384                                        // 000000008AC0: BF820044

0000000000008ac4 <label_133B>:
	s_mov_b32 s60, 0                                           // 000000008AC4: BEBC0080
	v_and_b32_e32 v28, 15, v0                                  // 000000008AC8: 2638008F
	v_add_u32_e64 v28, v28, s60                                // 000000008ACC: D134001C 0000791C
	v_mul_i32_i24_e64 v29, s46, 16                             // 000000008AD4: D106001D 0001202E
	v_add_u32_e32 v28, v28, v29                                // 000000008ADC: 68383B1C
	v_cmp_lt_u32_e64 s[60:61], v28, s100                       // 000000008AE0: D0C9003C 0000C91C
	s_nop 1                                                    // 000000008AE8: BF800001
	v_cndmask_b32_e64 v48, v151, v48, s[60:61]                 // 000000008AEC: D1000030 00F26197
	v_cndmask_b32_e64 v49, v151, v49, s[60:61]                 // 000000008AF4: D1000031 00F26397
	v_cndmask_b32_e64 v50, v151, v50, s[60:61]                 // 000000008AFC: D1000032 00F26597
	v_cndmask_b32_e64 v51, v151, v51, s[60:61]                 // 000000008B04: D1000033 00F26797
	s_branch label_1366                                        // 000000008B0C: BF820013

0000000000008b10 <label_1353>:
	s_mov_b32 s60, 64                                          // 000000008B10: BEBC00C0
	v_and_b32_e32 v28, 15, v0                                  // 000000008B14: 2638008F
	v_add_u32_e64 v28, v28, s60                                // 000000008B18: D134001C 0000791C
	v_mul_i32_i24_e64 v29, s46, 16                             // 000000008B20: D106001D 0001202E
	v_add_u32_e32 v28, v28, v29                                // 000000008B28: 68383B1C
	v_cmp_lt_u32_e64 s[60:61], v28, s100                       // 000000008B2C: D0C9003C 0000C91C
	s_nop 1                                                    // 000000008B34: BF800001
	v_cndmask_b32_e64 v52, v151, v52, s[60:61]                 // 000000008B38: D1000034 00F26997
	v_cndmask_b32_e64 v53, v151, v53, s[60:61]                 // 000000008B40: D1000035 00F26B97
	v_cndmask_b32_e64 v54, v151, v54, s[60:61]                 // 000000008B48: D1000036 00F26D97
	v_cndmask_b32_e64 v55, v151, v55, s[60:61]                 // 000000008B50: D1000037 00F26F97
	s_branch label_137F                                        // 000000008B58: BF820019

0000000000008b5c <label_1366>:
	v_mov_b32_e32 v52, v151                                    // 000000008B5C: 7E680397
	v_mov_b32_e32 v53, v151                                    // 000000008B60: 7E6A0397
	v_mov_b32_e32 v54, v151                                    // 000000008B64: 7E6C0397
	v_mov_b32_e32 v55, v151                                    // 000000008B68: 7E6E0397
	s_branch label_137F                                        // 000000008B6C: BF820014

0000000000008b70 <label_136B>:
	s_mov_b32 s60, 0x80                                        // 000000008B70: BEBC00FF 00000080
	v_and_b32_e32 v28, 15, v0                                  // 000000008B78: 2638008F
	v_add_u32_e64 v28, v28, s60                                // 000000008B7C: D134001C 0000791C
	v_mul_i32_i24_e64 v29, s46, 16                             // 000000008B84: D106001D 0001202E
	v_add_u32_e32 v28, v28, v29                                // 000000008B8C: 68383B1C
	v_cmp_lt_u32_e64 s[60:61], v28, s100                       // 000000008B90: D0C9003C 0000C91C
	s_nop 1                                                    // 000000008B98: BF800001
	v_cndmask_b32_e64 v56, v151, v56, s[60:61]                 // 000000008B9C: D1000038 00F27197
	v_cndmask_b32_e64 v57, v151, v57, s[60:61]                 // 000000008BA4: D1000039 00F27397
	v_cndmask_b32_e64 v58, v151, v58, s[60:61]                 // 000000008BAC: D100003A 00F27597
	v_cndmask_b32_e64 v59, v151, v59, s[60:61]                 // 000000008BB4: D100003B 00F27797
	s_branch label_1384                                        // 000000008BBC: BF820005

0000000000008bc0 <label_137F>:
	v_mov_b32_e32 v56, v151                                    // 000000008BC0: 7E700397
	v_mov_b32_e32 v57, v151                                    // 000000008BC4: 7E720397
	v_mov_b32_e32 v58, v151                                    // 000000008BC8: 7E740397
	v_mov_b32_e32 v59, v151                                    // 000000008BCC: 7E760397
	s_branch label_1384                                        // 000000008BD0: BF820000

0000000000008bd4 <label_1384>:
	s_addk_i32 s74, 0x1                                        // 000000008BD4: B74A0001
	s_waitcnt lgkmcnt(8)                                       // 000000008BD8: BF8CC87F
	s_barrier                                                  // 000000008BDC: BF8A0000
	v_mfma_f32_16x16x16_bf16 v[72:75], v[92:93], a[96:97], 0   // 000000008BE0: D3E10048 1202C15C
	v_fma_f32 v48, v48, s57, -v124                             // 000000008BE8: D1CB0030 85F07330
	v_fma_f32 v49, v49, s57, -v125                             // 000000008BF0: D1CB0031 85F47331
	v_fma_f32 v50, v50, s57, -v126                             // 000000008BF8: D1CB0032 85F87332
	v_mfma_f32_16x16x16_bf16 v[72:75], v[94:95], a[98:99], v[72:75]// 000000008C00: D3E10048 1522C55E
	ds_read_b128 a[144:147], v12 offset:4352                   // 000000008C08: DBFE1100 9000000C
	ds_read_b128 a[148:151], v12 offset:4864                   // 000000008C10: DBFE1300 9400000C
	v_mfma_f32_16x16x16_bf16 v[72:75], v[96:97], a[100:101], v[72:75]// 000000008C18: D3E10048 1522C960
	v_fma_f32 v51, v51, s57, -v127                             // 000000008C20: D1CB0033 85FC7333
	v_fma_f32 v52, v52, s57, -v124                             // 000000008C28: D1CB0034 85F07334
	v_fma_f32 v53, v53, s57, -v125                             // 000000008C30: D1CB0035 85F47335
	v_mfma_f32_16x16x16_bf16 v[72:75], v[98:99], a[102:103], v[72:75]// 000000008C38: D3E10048 1522CD62
	v_fma_f32 v54, v54, s57, -v126                             // 000000008C40: D1CB0036 85F87336
	v_fma_f32 v55, v55, s57, -v127                             // 000000008C48: D1CB0037 85FC7337
	v_fma_f32 v56, v56, s57, -v124                             // 000000008C50: D1CB0038 85F07338
	v_mfma_f32_16x16x16_bf16 v[72:75], v[100:101], a[104:105], v[72:75]// 000000008C58: D3E10048 1522D164
	v_fma_f32 v57, v57, s57, -v125                             // 000000008C60: D1CB0039 85F47339
	v_fma_f32 v58, v58, s57, -v126                             // 000000008C68: D1CB003A 85F8733A
	v_fma_f32 v59, v59, s57, -v127                             // 000000008C70: D1CB003B 85FC733B
	v_mfma_f32_16x16x16_bf16 v[72:75], v[102:103], a[106:107], v[72:75]// 000000008C78: D3E10048 1522D566
	ds_read_b128 a[152:155], v12 offset:6528                   // 000000008C80: DBFE1980 9800000C
	ds_read_b128 a[156:159], v12 offset:7040                   // 000000008C88: DBFE1B80 9C00000C
	v_mfma_f32_16x16x16_bf16 v[72:75], v[104:105], a[108:109], v[72:75]// 000000008C90: D3E10048 1522D968
	v_exp_f32_e32 v48, v48                                     // 000000008C98: 7E604130
	v_mfma_f32_16x16x16_bf16 v[72:75], v[106:107], a[110:111], v[72:75]// 000000008C9C: D3E10048 1522DD6A
	v_exp_f32_e32 v49, v49                                     // 000000008CA4: 7E624131
	v_mfma_f32_16x16x16_bf16 v[76:79], v[92:93], a[112:113], 0 // 000000008CA8: D3E1004C 1202E15C
	v_exp_f32_e32 v50, v50                                     // 000000008CB0: 7E644132
	v_mfma_f32_16x16x16_bf16 v[76:79], v[94:95], a[114:115], v[76:79]// 000000008CB4: D3E1004C 1532E55E
	ds_read_b64 v[136:137], v19 offset:24320                   // 000000008CBC: D8EC5F00 88000013
	ds_read_b64 v[138:139], v19 offset:26368                   // 000000008CC4: D8EC6700 8A000013
	v_mfma_f32_16x16x16_bf16 v[76:79], v[96:97], a[116:117], v[76:79]// 000000008CCC: D3E1004C 1532E960
	v_exp_f32_e32 v51, v51                                     // 000000008CD4: 7E664133
	v_mfma_f32_16x16x16_bf16 v[76:79], v[98:99], a[118:119], v[76:79]// 000000008CD8: D3E1004C 1532ED62
	ds_read_b64 v[140:141], v19 offset:28416                   // 000000008CE0: D8EC6F00 8C000013
	ds_read_b64 v[142:143], v19 offset:30464                   // 000000008CE8: D8EC7700 8E000013
	v_mfma_f32_16x16x16_bf16 v[76:79], v[100:101], a[120:121], v[76:79]// 000000008CF0: D3E1004C 1532F164
	v_exp_f32_e32 v52, v52                                     // 000000008CF8: 7E684134
	v_mfma_f32_16x16x16_bf16 v[76:79], v[102:103], a[122:123], v[76:79]// 000000008CFC: D3E1004C 1532F566
	v_exp_f32_e32 v53, v53                                     // 000000008D04: 7E6A4135
	v_mfma_f32_16x16x16_bf16 v[76:79], v[104:105], a[124:125], v[76:79]// 000000008D08: D3E1004C 1532F968
	v_exp_f32_e32 v54, v54                                     // 000000008D10: 7E6C4136
	v_mfma_f32_16x16x16_bf16 v[76:79], v[106:107], a[126:127], v[76:79]// 000000008D14: D3E1004C 1532FD6A
	v_exp_f32_e32 v55, v55                                     // 000000008D1C: 7E6E4137
	v_mfma_f32_16x16x16_bf16 v[80:83], v[92:93], a[128:129], 0 // 000000008D20: D3E10050 1203015C
	v_exp_f32_e32 v56, v56                                     // 000000008D28: 7E704138
	v_mfma_f32_16x16x16_bf16 v[80:83], v[94:95], a[130:131], v[80:83]// 000000008D2C: D3E10050 1543055E
	v_exp_f32_e32 v57, v57                                     // 000000008D34: 7E724139
	v_mfma_f32_16x16x16_bf16 v[80:83], v[96:97], a[132:133], v[80:83]// 000000008D38: D3E10050 15430960
	v_exp_f32_e32 v58, v58                                     // 000000008D40: 7E74413A
	v_mfma_f32_16x16x16_bf16 v[80:83], v[98:99], a[134:135], v[80:83]// 000000008D44: D3E10050 15430D62
	v_exp_f32_e32 v59, v59                                     // 000000008D4C: 7E76413B
	v_mfma_f32_16x16x16_bf16 v[80:83], v[100:101], a[136:137], v[80:83]// 000000008D50: D3E10050 15431164
	v_cmp_u_f32_e64 s[78:79], v48, v48                         // 000000008D58: D048004E 00026130
	v_bfe_u32 v248, v48, 16, 1                                 // 000000008D60: D1C800F8 02052130
	v_add3_u32 v248, v48, v248, v251                           // 000000008D68: D1FF00F8 07EFF130
	v_cndmask_b32_e64 v28, v248, v250, s[78:79]                // 000000008D70: D100001C 013BF5F8
	v_lshrrev_b32_e32 v28, 16, v28                             // 000000008D78: 20383890
	v_cmp_u_f32_e64 s[78:79], v49, v49                         // 000000008D7C: D048004E 00026331
	v_bfe_u32 v248, v49, 16, 1                                 // 000000008D84: D1C800F8 02052131
	v_add3_u32 v248, v49, v248, v251                           // 000000008D8C: D1FF00F8 07EFF131
	v_cndmask_b32_e64 v29, v248, v250, s[78:79]                // 000000008D94: D100001D 013BF5F8
	v_and_or_b32 v144, v29, v249, v28                          // 000000008D9C: D2010090 0473F31D
	v_cmp_u_f32_e64 s[78:79], v50, v50                         // 000000008DA4: D048004E 00026532
	v_bfe_u32 v248, v50, 16, 1                                 // 000000008DAC: D1C800F8 02052132
	v_add3_u32 v248, v50, v248, v251                           // 000000008DB4: D1FF00F8 07EFF132
	v_cndmask_b32_e64 v28, v248, v250, s[78:79]                // 000000008DBC: D100001C 013BF5F8
	v_lshrrev_b32_e32 v28, 16, v28                             // 000000008DC4: 20383890
	v_cmp_u_f32_e64 s[78:79], v51, v51                         // 000000008DC8: D048004E 00026733
	v_bfe_u32 v248, v51, 16, 1                                 // 000000008DD0: D1C800F8 02052133
	v_add3_u32 v248, v51, v248, v251                           // 000000008DD8: D1FF00F8 07EFF133
	v_cndmask_b32_e64 v29, v248, v250, s[78:79]                // 000000008DE0: D100001D 013BF5F8
	v_and_or_b32 v145, v29, v249, v28                          // 000000008DE8: D2010091 0473F31D
	v_cmp_u_f32_e64 s[78:79], v52, v52                         // 000000008DF0: D048004E 00026934
	v_bfe_u32 v248, v52, 16, 1                                 // 000000008DF8: D1C800F8 02052134
	v_add3_u32 v248, v52, v248, v251                           // 000000008E00: D1FF00F8 07EFF134
	v_cndmask_b32_e64 v28, v248, v250, s[78:79]                // 000000008E08: D100001C 013BF5F8
	v_lshrrev_b32_e32 v28, 16, v28                             // 000000008E10: 20383890
	v_cmp_u_f32_e64 s[78:79], v53, v53                         // 000000008E14: D048004E 00026B35
	v_bfe_u32 v248, v53, 16, 1                                 // 000000008E1C: D1C800F8 02052135
	v_add3_u32 v248, v53, v248, v251                           // 000000008E24: D1FF00F8 07EFF135
	v_cndmask_b32_e64 v29, v248, v250, s[78:79]                // 000000008E2C: D100001D 013BF5F8
	v_and_or_b32 v146, v29, v249, v28                          // 000000008E34: D2010092 0473F31D
	v_mfma_f32_16x16x16_bf16 v[80:83], v[102:103], a[138:139], v[80:83]// 000000008E3C: D3E10050 15431566
	v_cmp_u_f32_e64 s[78:79], v54, v54                         // 000000008E44: D048004E 00026D36
	v_bfe_u32 v248, v54, 16, 1                                 // 000000008E4C: D1C800F8 02052136
	v_add3_u32 v248, v54, v248, v251                           // 000000008E54: D1FF00F8 07EFF136
	v_cndmask_b32_e64 v28, v248, v250, s[78:79]                // 000000008E5C: D100001C 013BF5F8
	v_lshrrev_b32_e32 v28, 16, v28                             // 000000008E64: 20383890
	v_cmp_u_f32_e64 s[78:79], v55, v55                         // 000000008E68: D048004E 00026F37
	v_bfe_u32 v248, v55, 16, 1                                 // 000000008E70: D1C800F8 02052137
	v_add3_u32 v248, v55, v248, v251                           // 000000008E78: D1FF00F8 07EFF137
	v_cndmask_b32_e64 v29, v248, v250, s[78:79]                // 000000008E80: D100001D 013BF5F8
	v_and_or_b32 v147, v29, v249, v28                          // 000000008E88: D2010093 0473F31D
	v_cmp_u_f32_e64 s[78:79], v56, v56                         // 000000008E90: D048004E 00027138
	v_bfe_u32 v248, v56, 16, 1                                 // 000000008E98: D1C800F8 02052138
	v_add3_u32 v248, v56, v248, v251                           // 000000008EA0: D1FF00F8 07EFF138
	v_cndmask_b32_e64 v28, v248, v250, s[78:79]                // 000000008EA8: D100001C 013BF5F8
	v_lshrrev_b32_e32 v28, 16, v28                             // 000000008EB0: 20383890
	v_cmp_u_f32_e64 s[78:79], v57, v57                         // 000000008EB4: D048004E 00027339
	v_bfe_u32 v248, v57, 16, 1                                 // 000000008EBC: D1C800F8 02052139
	v_add3_u32 v248, v57, v248, v251                           // 000000008EC4: D1FF00F8 07EFF139
	v_cndmask_b32_e64 v29, v248, v250, s[78:79]                // 000000008ECC: D100001D 013BF5F8
	v_and_or_b32 v148, v29, v249, v28                          // 000000008ED4: D2010094 0473F31D
	v_cmp_u_f32_e64 s[78:79], v58, v58                         // 000000008EDC: D048004E 0002753A
	v_bfe_u32 v248, v58, 16, 1                                 // 000000008EE4: D1C800F8 0205213A
	v_add3_u32 v248, v58, v248, v251                           // 000000008EEC: D1FF00F8 07EFF13A
	v_cndmask_b32_e64 v28, v248, v250, s[78:79]                // 000000008EF4: D100001C 013BF5F8
	v_lshrrev_b32_e32 v28, 16, v28                             // 000000008EFC: 20383890
	v_cmp_u_f32_e64 s[78:79], v59, v59                         // 000000008F00: D048004E 0002773B
	v_bfe_u32 v248, v59, 16, 1                                 // 000000008F08: D1C800F8 0205213B
	v_add3_u32 v248, v59, v248, v251                           // 000000008F10: D1FF00F8 07EFF13B
	v_cndmask_b32_e64 v29, v248, v250, s[78:79]                // 000000008F18: D100001D 013BF5F8
	v_and_or_b32 v149, v29, v249, v28                          // 000000008F20: D2010095 0473F31D
	v_mfma_f32_16x16x16_bf16 v[80:83], v[104:105], a[140:141], v[80:83]// 000000008F28: D3E10050 15431968
	v_add_u32_e32 v7, s66, v7                                  // 000000008F30: 680E0E42
	v_add_u32_e32 v8, s66, v8                                  // 000000008F34: 68101042
	v_mfma_f32_16x16x16_bf16 v[80:83], v[106:107], a[142:143], v[80:83]// 000000008F38: D3E10050 15431D6A
	s_waitcnt lgkmcnt(0)                                       // 000000008F40: BF8CC07F
	s_barrier                                                  // 000000008F44: BF8A0000
	v_mfma_f32_16x16x16_bf16 v[152:155], v[108:109], v[144:145], v[152:155]// 000000008F48: D3E10098 0663216C
	v_subrev_f32_dpp v72, v150, v72 quad_perm:[0,0,0,0] row_mask:0xf bank_mask:0xf// 000000008F50: 069090FA FF000096
	v_subrev_f32_dpp v73, v150, v73 quad_perm:[1,1,1,1] row_mask:0xf bank_mask:0xf// 000000008F58: 069292FA FF005596
	v_subrev_f32_dpp v74, v150, v74 quad_perm:[2,2,2,2] row_mask:0xf bank_mask:0xf// 000000008F60: 069494FA FF00AA96
	v_mfma_f32_16x16x16_bf16 v[156:159], v[110:111], v[144:145], v[156:159]// 000000008F68: D3E1009C 0673216E
	v_subrev_f32_dpp v75, v150, v75 quad_perm:[3,3,3,3] row_mask:0xf bank_mask:0xf// 000000008F70: 069696FA FF00FF96
	v_subrev_f32_dpp v76, v150, v76 quad_perm:[0,0,0,0] row_mask:0xf bank_mask:0xf// 000000008F78: 069898FA FF000096
	v_subrev_f32_dpp v77, v150, v77 quad_perm:[1,1,1,1] row_mask:0xf bank_mask:0xf// 000000008F80: 069A9AFA FF005596
	v_mfma_f32_16x16x16_bf16 v[160:163], v[112:113], v[144:145], v[160:163]// 000000008F88: D3E100A0 06832170
	v_mul_f32_e32 v72, v48, v72                                // 000000008F90: 0A909130
	v_mul_f32_e32 v73, v49, v73                                // 000000008F94: 0A929331
	v_mul_f32_e32 v74, v50, v74                                // 000000008F98: 0A949532
	v_mfma_f32_16x16x16_bf16 v[164:167], v[114:115], v[144:145], v[164:167]// 000000008F9C: D3E100A4 06932172
	v_mul_f32_e32 v75, v51, v75                                // 000000008FA4: 0A969733
	v_mul_f32_e32 v76, v52, v76                                // 000000008FA8: 0A989934
	v_mul_f32_e32 v77, v53, v77                                // 000000008FAC: 0A9A9B35
	v_mfma_f32_16x16x16_bf16 v[168:171], v[116:117], v[144:145], v[168:171]// 000000008FB0: D3E100A8 06A32174
	v_cmp_u_f32_e64 s[78:79], v72, v72                         // 000000008FB8: D048004E 00029148
	v_bfe_u32 v248, v72, 16, 1                                 // 000000008FC0: D1C800F8 02052148
	v_add3_u32 v248, v72, v248, v251                           // 000000008FC8: D1FF00F8 07EFF148
	v_cndmask_b32_e64 v28, v248, v250, s[78:79]                // 000000008FD0: D100001C 013BF5F8
	v_lshrrev_b32_e32 v28, 16, v28                             // 000000008FD8: 20383890
	v_cmp_u_f32_e64 s[78:79], v73, v73                         // 000000008FDC: D048004E 00029349
	v_bfe_u32 v248, v73, 16, 1                                 // 000000008FE4: D1C800F8 02052149
	v_add3_u32 v248, v73, v248, v251                           // 000000008FEC: D1FF00F8 07EFF149
	v_cndmask_b32_e64 v29, v248, v250, s[78:79]                // 000000008FF4: D100001D 013BF5F8
	v_and_or_b32 v72, v29, v249, v28                           // 000000008FFC: D2010048 0473F31D
	v_cmp_u_f32_e64 s[78:79], v74, v74                         // 000000009004: D048004E 0002954A
	v_bfe_u32 v248, v74, 16, 1                                 // 00000000900C: D1C800F8 0205214A
	v_add3_u32 v248, v74, v248, v251                           // 000000009014: D1FF00F8 07EFF14A
	v_cndmask_b32_e64 v28, v248, v250, s[78:79]                // 00000000901C: D100001C 013BF5F8
	v_lshrrev_b32_e32 v28, 16, v28                             // 000000009024: 20383890
	v_cmp_u_f32_e64 s[78:79], v75, v75                         // 000000009028: D048004E 0002974B
	v_bfe_u32 v248, v75, 16, 1                                 // 000000009030: D1C800F8 0205214B
	v_add3_u32 v248, v75, v248, v251                           // 000000009038: D1FF00F8 07EFF14B
	v_cndmask_b32_e64 v29, v248, v250, s[78:79]                // 000000009040: D100001D 013BF5F8
	v_and_or_b32 v73, v29, v249, v28                           // 000000009048: D2010049 0473F31D
	v_cmp_u_f32_e64 s[78:79], v76, v76                         // 000000009050: D048004E 0002994C
	v_bfe_u32 v248, v76, 16, 1                                 // 000000009058: D1C800F8 0205214C
	v_add3_u32 v248, v76, v248, v251                           // 000000009060: D1FF00F8 07EFF14C
	v_cndmask_b32_e64 v28, v248, v250, s[78:79]                // 000000009068: D100001C 013BF5F8
	v_lshrrev_b32_e32 v28, 16, v28                             // 000000009070: 20383890
	v_cmp_u_f32_e64 s[78:79], v77, v77                         // 000000009074: D048004E 00029B4D
	v_bfe_u32 v248, v77, 16, 1                                 // 00000000907C: D1C800F8 0205214D
	v_add3_u32 v248, v77, v248, v251                           // 000000009084: D1FF00F8 07EFF14D
	v_cndmask_b32_e64 v29, v248, v250, s[78:79]                // 00000000908C: D100001D 013BF5F8
	v_and_or_b32 v74, v29, v249, v28                           // 000000009094: D201004A 0473F31D
	v_mfma_f32_16x16x16_bf16 v[172:175], v[118:119], v[144:145], v[172:175]// 00000000909C: D3E100AC 06B32176
	v_mov_b32_dpp v16, v72 quad_perm:[1,0,3,2] row_mask:0xf bank_mask:0xf// 0000000090A4: 7E2002FA FF00B148
	v_perm_b32 v48, v16, v72, v15                              // 0000000090AC: D1ED0030 043E9110
	v_mov_b32_dpp v16, v73 quad_perm:[1,0,3,2] row_mask:0xf bank_mask:0xf// 0000000090B4: 7E2002FA FF00B149
	v_mfma_f32_16x16x16_bf16 v[176:179], v[120:121], v[144:145], v[176:179]// 0000000090BC: D3E100B0 06C32178
	ds_write_b32 v18, v48 offset:17408                         // 0000000090C4: D81A4400 00003012
	v_mfma_f32_16x16x16_bf16 v[180:183], v[122:123], v[144:145], v[180:183]// 0000000090CC: D3E100B4 06D3217A
	v_perm_b32 v49, v16, v73, v15                              // 0000000090D4: D1ED0031 043E9310
	v_mov_b32_dpp v16, v74 quad_perm:[1,0,3,2] row_mask:0xf bank_mask:0xf// 0000000090DC: 7E2002FA FF00B14A
	v_perm_b32 v50, v16, v74, v15                              // 0000000090E4: D1ED0032 043E9510
	v_mfma_f32_16x16x16_bf16 v[184:187], v[108:109], v[146:147], v[184:187]// 0000000090EC: D3E100B8 06E3256C
	ds_write_b32 v18, v49 offset:17952                         // 0000000090F4: D81A4620 00003112
	v_mfma_f32_16x16x16_bf16 v[188:191], v[110:111], v[146:147], v[188:191]// 0000000090FC: D3E100BC 06F3256E
	v_subrev_f32_dpp v78, v150, v78 quad_perm:[2,2,2,2] row_mask:0xf bank_mask:0xf// 000000009104: 069C9CFA FF00AA96
	v_subrev_f32_dpp v79, v150, v79 quad_perm:[3,3,3,3] row_mask:0xf bank_mask:0xf// 00000000910C: 069E9EFA FF00FF96
	v_subrev_f32_dpp v80, v150, v80 quad_perm:[0,0,0,0] row_mask:0xf bank_mask:0xf// 000000009114: 06A0A0FA FF000096
	v_mfma_f32_16x16x16_bf16 v[192:195], v[112:113], v[146:147], v[192:195]// 00000000911C: D3E100C0 07032570
	ds_write_b32 v18, v50 offset:19712                         // 000000009124: D81A4D00 00003212
	v_mfma_f32_16x16x16_bf16 v[196:199], v[114:115], v[146:147], v[196:199]// 00000000912C: D3E100C4 07132572
	v_subrev_f32_dpp v81, v150, v81 quad_perm:[1,1,1,1] row_mask:0xf bank_mask:0xf// 000000009134: 06A2A2FA FF005596
	v_subrev_f32_dpp v82, v150, v82 quad_perm:[2,2,2,2] row_mask:0xf bank_mask:0xf// 00000000913C: 06A4A4FA FF00AA96
	v_subrev_f32_dpp v83, v150, v83 quad_perm:[3,3,3,3] row_mask:0xf bank_mask:0xf// 000000009144: 06A6A6FA FF00FF96
	v_mfma_f32_16x16x16_bf16 v[200:203], v[116:117], v[146:147], v[200:203]// 00000000914C: D3E100C8 07232574
	v_mul_f32_e32 v78, v54, v78                                // 000000009154: 0A9C9D36
	v_mul_f32_e32 v79, v55, v79                                // 000000009158: 0A9E9F37
	v_mul_f32_e32 v80, v56, v80                                // 00000000915C: 0AA0A138
	v_mfma_f32_16x16x16_bf16 v[204:207], v[118:119], v[146:147], v[204:207]// 000000009160: D3E100CC 07332576
	v_mul_f32_e32 v81, v57, v81                                // 000000009168: 0AA2A339
	v_mul_f32_e32 v82, v58, v82                                // 00000000916C: 0AA4A53A
	v_mul_f32_e32 v83, v59, v83                                // 000000009170: 0AA6A73B
	v_mfma_f32_16x16x16_bf16 v[208:211], v[120:121], v[146:147], v[208:211]// 000000009174: D3E100D0 07432578
	v_cmp_u_f32_e64 s[78:79], v78, v78                         // 00000000917C: D048004E 00029D4E
	v_bfe_u32 v248, v78, 16, 1                                 // 000000009184: D1C800F8 0205214E
	v_add3_u32 v248, v78, v248, v251                           // 00000000918C: D1FF00F8 07EFF14E
	v_cndmask_b32_e64 v28, v248, v250, s[78:79]                // 000000009194: D100001C 013BF5F8
	v_lshrrev_b32_e32 v28, 16, v28                             // 00000000919C: 20383890
	v_cmp_u_f32_e64 s[78:79], v79, v79                         // 0000000091A0: D048004E 00029F4F
	v_bfe_u32 v248, v79, 16, 1                                 // 0000000091A8: D1C800F8 0205214F
	v_add3_u32 v248, v79, v248, v251                           // 0000000091B0: D1FF00F8 07EFF14F
	v_cndmask_b32_e64 v29, v248, v250, s[78:79]                // 0000000091B8: D100001D 013BF5F8
	v_and_or_b32 v75, v29, v249, v28                           // 0000000091C0: D201004B 0473F31D
	v_cmp_u_f32_e64 s[78:79], v80, v80                         // 0000000091C8: D048004E 0002A150
	v_bfe_u32 v248, v80, 16, 1                                 // 0000000091D0: D1C800F8 02052150
	v_add3_u32 v248, v80, v248, v251                           // 0000000091D8: D1FF00F8 07EFF150
	v_cndmask_b32_e64 v28, v248, v250, s[78:79]                // 0000000091E0: D100001C 013BF5F8
	v_lshrrev_b32_e32 v28, 16, v28                             // 0000000091E8: 20383890
	v_cmp_u_f32_e64 s[78:79], v81, v81                         // 0000000091EC: D048004E 0002A351
	v_bfe_u32 v248, v81, 16, 1                                 // 0000000091F4: D1C800F8 02052151
	v_add3_u32 v248, v81, v248, v251                           // 0000000091FC: D1FF00F8 07EFF151
	v_cndmask_b32_e64 v29, v248, v250, s[78:79]                // 000000009204: D100001D 013BF5F8
	v_and_or_b32 v76, v29, v249, v28                           // 00000000920C: D201004C 0473F31D
	v_cmp_u_f32_e64 s[78:79], v82, v82                         // 000000009214: D048004E 0002A552
	v_bfe_u32 v248, v82, 16, 1                                 // 00000000921C: D1C800F8 02052152
	v_add3_u32 v248, v82, v248, v251                           // 000000009224: D1FF00F8 07EFF152
	v_cndmask_b32_e64 v28, v248, v250, s[78:79]                // 00000000922C: D100001C 013BF5F8
	v_lshrrev_b32_e32 v28, 16, v28                             // 000000009234: 20383890
	v_cmp_u_f32_e64 s[78:79], v83, v83                         // 000000009238: D048004E 0002A753
	v_bfe_u32 v248, v83, 16, 1                                 // 000000009240: D1C800F8 02052153
	v_add3_u32 v248, v83, v248, v251                           // 000000009248: D1FF00F8 07EFF153
	v_cndmask_b32_e64 v29, v248, v250, s[78:79]                // 000000009250: D100001D 013BF5F8
	v_and_or_b32 v77, v29, v249, v28                           // 000000009258: D201004D 0473F31D
	v_mfma_f32_16x16x16_bf16 v[212:215], v[122:123], v[146:147], v[212:215]// 000000009260: D3E100D4 0753257A
	v_mov_b32_dpp v16, v75 quad_perm:[1,0,3,2] row_mask:0xf bank_mask:0xf// 000000009268: 7E2002FA FF00B14B
	v_perm_b32 v51, v16, v75, v15                              // 000000009270: D1ED0033 043E9710
	v_mov_b32_dpp v16, v76 quad_perm:[1,0,3,2] row_mask:0xf bank_mask:0xf// 000000009278: 7E2002FA FF00B14C
	v_mfma_f32_16x16x16_bf16 v[216:219], v[108:109], v[148:149], v[216:219]// 000000009280: D3E100D8 0763296C
	ds_write_b32 v18, v51 offset:20256                         // 000000009288: D81A4F20 00003312
	v_mfma_f32_16x16x16_bf16 v[220:223], v[110:111], v[148:149], v[220:223]// 000000009290: D3E100DC 0773296E
	v_perm_b32 v52, v16, v76, v15                              // 000000009298: D1ED0034 043E9910
	v_mov_b32_dpp v16, v77 quad_perm:[1,0,3,2] row_mask:0xf bank_mask:0xf// 0000000092A0: 7E2002FA FF00B14D
	v_perm_b32 v53, v16, v77, v15                              // 0000000092A8: D1ED0035 043E9B10
	v_mfma_f32_16x16x16_bf16 v[224:227], v[112:113], v[148:149], v[224:227]// 0000000092B0: D3E100E0 07832970
	ds_write_b32 v18, v52 offset:22016                         // 0000000092B8: D81A5600 00003412
	ds_write_b32 v18, v53 offset:22560                         // 0000000092C0: D81A5820 00003512
	v_mfma_f32_16x16x16_bf16 v[228:231], v[114:115], v[148:149], v[228:231]// 0000000092C8: D3E100E4 07932972
	v_mfma_f32_16x16x16_bf16 v[232:235], v[116:117], v[148:149], v[232:235]// 0000000092D0: D3E100E8 07A32974
	ds_write_b32 v13, v84 offset:4352                          // 0000000092D8: D81A1100 0000540D
	ds_write_b32 v13, v85 offset:5408                          // 0000000092E0: D81A1520 0000550D
	v_mfma_f32_16x16x16_bf16 v[236:239], v[118:119], v[148:149], v[236:239]// 0000000092E8: D3E100EC 07B32976
	v_mfma_f32_16x16x16_bf16 v[240:243], v[120:121], v[148:149], v[240:243]// 0000000092F0: D3E100F0 07C32978
	ds_write_b32 v13, v86 offset:4480                          // 0000000092F8: D81A1180 0000560D
	ds_write_b32 v13, v87 offset:5536                          // 000000009300: D81A15A0 0000570D
	v_mfma_f32_16x16x16_bf16 v[244:247], v[122:123], v[148:149], v[244:247]// 000000009308: D3E100F4 07D3297A
	s_nop 0                                                    // 000000009310: BF800000
	s_nop 0                                                    // 000000009314: BF800000
	;; [unrolled: 1-line block ×3, first 2 shown]
	s_barrier                                                  // 00000000931C: BF8A0000
	v_mfma_f32_16x16x16_bf16 a[160:163], a[144:145], v[72:73], a[160:163]// 000000009320: D3E180A0 0E829190
	ds_read_b32 v124, v21 offset:51200                         // 000000009328: D86CC800 7C000015
	ds_read_b32 v150, v21 offset:51456                         // 000000009330: D86CC900 96000015
	v_mfma_f32_16x16x16_bf16 a[164:167], a[146:147], v[72:73], a[164:167]// 000000009338: D3E180A4 0E929192
	buffer_atomic_add_f32 v136, v7, s[32:35], 0 offen          // 000000009340: E1341000 80088807
	v_mfma_f32_16x16x16_bf16 a[168:171], a[148:149], v[72:73], a[168:171]// 000000009348: D3E180A8 0EA29194
	s_waitcnt lgkmcnt(6)                                       // 000000009350: BF8CC67F
	s_barrier                                                  // 000000009354: BF8A0000
	v_mfma_f32_16x16x16_bf16 a[172:175], a[150:151], v[72:73], a[172:175]// 000000009358: D3E180AC 0EB29196
	v_mfma_f32_16x16x16_bf16 a[176:179], a[152:153], v[72:73], a[176:179]// 000000009360: D3E180B0 0EC29198
	ds_read_b128 v[48:51], v17 offset:17408                    // 000000009368: D9FE4400 30000011
	v_mfma_f32_16x16x16_bf16 a[180:183], a[154:155], v[72:73], a[180:183]// 000000009370: D3E180B4 0ED2919A
	v_mfma_f32_16x16x16_bf16 a[184:187], a[156:157], v[72:73], a[184:187]// 000000009378: D3E180B8 0EE2919C
	ds_read_b128 v[52:55], v17 offset:18560                    // 000000009380: D9FE4880 34000011
	v_mfma_f32_16x16x16_bf16 a[188:191], a[158:159], v[72:73], a[188:191]// 000000009388: D3E180BC 0EF2919E
	buffer_atomic_add_f32 v137, v8, s[32:35], 0 offen          // 000000009390: E1341000 80088908
	v_mfma_f32_16x16x16_bf16 a[192:195], a[144:145], v[74:75], a[192:195]// 000000009398: D3E180C0 0F029590
	ds_read_b128 v[56:59], v17 offset:19712                    // 0000000093A0: D9FE4D00 38000011
	v_mfma_f32_16x16x16_bf16 a[196:199], a[146:147], v[74:75], a[196:199]// 0000000093A8: D3E180C4 0F129592
	v_mfma_f32_16x16x16_bf16 a[200:203], a[148:149], v[74:75], a[200:203]// 0000000093B0: D3E180C8 0F229594
	ds_read_b128 v[60:63], v17 offset:20864                    // 0000000093B8: D9FE5180 3C000011
	v_mfma_f32_16x16x16_bf16 a[204:207], a[150:151], v[74:75], a[204:207]// 0000000093C0: D3E180CC 0F329596
	v_mfma_f32_16x16x16_bf16 a[208:211], a[152:153], v[74:75], a[208:211]// 0000000093C8: D3E180D0 0F429598
	ds_read_b128 v[64:67], v17 offset:22016                    // 0000000093D0: D9FE5600 40000011
	v_mfma_f32_16x16x16_bf16 a[212:215], a[154:155], v[74:75], a[212:215]// 0000000093D8: D3E180D4 0F52959A
	buffer_atomic_add_f32 v138, v7, s[32:35], 0 offen offset:128// 0000000093E0: E1341080 80088A07
	v_mfma_f32_16x16x16_bf16 a[216:219], a[156:157], v[74:75], a[216:219]// 0000000093E8: D3E180D8 0F62959C
	ds_read_b128 v[68:71], v17 offset:23168                    // 0000000093F0: D9FE5A80 44000011
	v_mfma_f32_16x16x16_bf16 a[220:223], a[158:159], v[74:75], a[220:223]// 0000000093F8: D3E180DC 0F72959E
	v_mfma_f32_16x16x16_bf16 a[224:227], a[144:145], v[76:77], a[224:227]// 000000009400: D3E180E0 0F829990
	ds_write_b32 v13, v88 offset:13056                         // 000000009408: D81A3300 0000580D
	v_mfma_f32_16x16x16_bf16 a[228:231], a[146:147], v[76:77], a[228:231]// 000000009410: D3E180E4 0F929992
	v_mfma_f32_16x16x16_bf16 a[232:235], a[148:149], v[76:77], a[232:235]// 000000009418: D3E180E8 0FA29994
	ds_write_b32 v13, v89 offset:14112                         // 000000009420: D81A3720 0000590D
	v_mfma_f32_16x16x16_bf16 a[236:239], a[150:151], v[76:77], a[236:239]// 000000009428: D3E180EC 0FB29996
	buffer_atomic_add_f32 v139, v8, s[32:35], 0 offen offset:128// 000000009430: E1341080 80088B08
	v_mfma_f32_16x16x16_bf16 a[240:243], a[152:153], v[76:77], a[240:243]// 000000009438: D3E180F0 0FC29998
	ds_write_b32 v13, v90 offset:13184                         // 000000009440: D81A3380 00005A0D
	v_mfma_f32_16x16x16_bf16 a[244:247], a[154:155], v[76:77], a[244:247]// 000000009448: D3E180F4 0FD2999A
	v_mfma_f32_16x16x16_bf16 a[248:251], a[156:157], v[76:77], a[248:251]// 000000009450: D3E180F8 0FE2999C
	ds_write_b32 v13, v91 offset:14240                         // 000000009458: D81A37A0 00005B0D
	v_mfma_f32_16x16x16_bf16 a[252:255], a[158:159], v[76:77], a[252:255]// 000000009460: D3E180FC 0FF2999E
	s_waitcnt vmcnt(8) lgkmcnt(4)                              // 000000009468: BF8C0478
	s_barrier                                                  // 00000000946C: BF8A0000
	v_mfma_f32_16x16x16_bf16 v[128:131], v[48:49], a[48:49], 0 // 000000009470: D3E10080 12026130
	ds_read_b128 a[144:147], v10                               // 000000009478: DBFE0000 9000000A
	v_mov_b32_e32 v36, 0                                       // 000000009480: 7E480280
	s_mov_b64 exec, s[90:91]                                   // 000000009484: BEFE015A
	buffer_load_dword v36, v1, s[8:11], 0 idxen                // 000000009488: E0502000 80022401
	s_mov_b32 exec_lo, -1                                      // 000000009490: BEFE00C1
	s_mov_b32 exec_hi, -1                                      // 000000009494: BEFF00C1
	v_mfma_f32_16x16x16_bf16 v[128:131], v[50:51], a[52:53], v[128:131]// 000000009498: D3E10080 16026932
	v_mul_f32_e32 v124, s48, v124                              // 0000000094A0: 0AF8F830
	s_nop 0                                                    // 0000000094A4: BF800000
	v_mfma_f32_16x16x16_bf16 v[128:131], v[52:53], a[56:57], v[128:131]// 0000000094A8: D3E10080 16027134
	ds_read_b128 a[148:151], v10 offset:512                    // 0000000094B0: DBFE0200 9400000A
	v_mov_b32_e32 v37, 0                                       // 0000000094B8: 7E4A0280
	s_mov_b64 exec, s[90:91]                                   // 0000000094BC: BEFE015A
	buffer_load_dword v37, v2, s[8:11], 0 idxen                // 0000000094C0: E0502000 80022502
	s_mov_b32 exec_lo, -1                                      // 0000000094C8: BEFE00C1
	s_mov_b32 exec_hi, -1                                      // 0000000094CC: BEFF00C1
	v_mfma_f32_16x16x16_bf16 v[128:131], v[54:55], a[60:61], v[128:131]// 0000000094D0: D3E10080 16027936
	v_mfma_f32_16x16x16_bf16 v[128:131], v[56:57], a[64:65], v[128:131]// 0000000094D8: D3E10080 16028138
	ds_read_b128 a[152:155], v10 offset:2176                   // 0000000094E0: DBFE0880 9800000A
	v_mov_b32_e32 v38, 0                                       // 0000000094E8: 7E4C0280
	s_mov_b64 exec, s[90:91]                                   // 0000000094EC: BEFE015A
	buffer_load_dword v38, v3, s[8:11], 0 idxen                // 0000000094F0: E0502000 80022603
	s_mov_b32 exec_lo, -1                                      // 0000000094F8: BEFE00C1
	s_mov_b32 exec_hi, -1                                      // 0000000094FC: BEFF00C1
	v_mfma_f32_16x16x16_bf16 v[128:131], v[58:59], a[68:69], v[128:131]// 000000009500: D3E10080 1602893A
	v_perm_b32 v84, v33, v32, s63                              // 000000009508: D1ED0054 00FE4121
	v_perm_b32 v85, v33, v32, s64                              // 000000009510: D1ED0055 01024121
	v_mfma_f32_16x16x16_bf16 v[128:131], v[60:61], a[72:73], v[128:131]// 000000009518: D3E10080 1602913C
	ds_read_b128 a[156:159], v10 offset:2688                   // 000000009520: DBFE0A80 9C00000A
	v_mov_b32_e32 v39, 0                                       // 000000009528: 7E4E0280
	s_mov_b64 exec, s[90:91]                                   // 00000000952C: BEFE015A
	buffer_load_dword v39, v4, s[8:11], 0 idxen                // 000000009530: E0502000 80022704
	s_mov_b32 exec_lo, -1                                      // 000000009538: BEFE00C1
	s_mov_b32 exec_hi, -1                                      // 00000000953C: BEFF00C1
	v_mfma_f32_16x16x16_bf16 v[128:131], v[62:63], a[76:77], v[128:131]// 000000009540: D3E10080 1602993E
	v_perm_b32 v86, v35, v34, s63                              // 000000009548: D1ED0056 00FE4523
	v_perm_b32 v87, v35, v34, s64                              // 000000009550: D1ED0057 01024523
	v_mfma_f32_16x16x16_bf16 v[128:131], v[64:65], a[80:81], v[128:131]// 000000009558: D3E10080 1602A140
	ds_read_b128 v[92:95], v10 offset:8704                     // 000000009560: D9FE2200 5C00000A
	v_mov_b32_e32 v44, 0                                       // 000000009568: 7E580280
	s_mov_b64 exec, s[90:91]                                   // 00000000956C: BEFE015A
	buffer_load_dword v44, v252, s[20:23], 0 idxen             // 000000009570: E0502000 80052CFC
	s_mov_b32 exec_lo, -1                                      // 000000009578: BEFE00C1
	s_mov_b32 exec_hi, -1                                      // 00000000957C: BEFF00C1
	v_mfma_f32_16x16x16_bf16 v[128:131], v[66:67], a[84:85], v[128:131]// 000000009580: D3E10080 1602A942
	v_perm_b32 v88, v41, v40, s63                              // 000000009588: D1ED0058 00FE5129
	v_perm_b32 v89, v41, v40, s64                              // 000000009590: D1ED0059 01025129
	v_mfma_f32_16x16x16_bf16 v[128:131], v[68:69], a[88:89], v[128:131]// 000000009598: D3E10080 1602B144
	ds_read_b128 v[96:99], v10 offset:9216                     // 0000000095A0: D9FE2400 6000000A
	v_mov_b32_e32 v45, 0                                       // 0000000095A8: 7E5A0280
	s_mov_b64 exec, s[90:91]                                   // 0000000095AC: BEFE015A
	buffer_load_dword v45, v253, s[20:23], 0 idxen             // 0000000095B0: E0502000 80052DFD
	s_mov_b32 exec_lo, -1                                      // 0000000095B8: BEFE00C1
	s_mov_b32 exec_hi, -1                                      // 0000000095BC: BEFF00C1
	v_mfma_f32_16x16x16_bf16 v[128:131], v[70:71], a[92:93], v[128:131]// 0000000095C0: D3E10080 1602B946
	v_perm_b32 v90, v43, v42, s63                              // 0000000095C8: D1ED005A 00FE552B
	v_perm_b32 v91, v43, v42, s64                              // 0000000095D0: D1ED005B 0102552B
	v_mfma_f32_16x16x16_bf16 v[132:135], v[48:49], a[50:51], 0 // 0000000095D8: D3E10084 12026530
	ds_read_b128 v[100:103], v10 offset:10880                  // 0000000095E0: D9FE2A80 6400000A
	v_mov_b32_e32 v46, 0                                       // 0000000095E8: 7E5C0280
	s_mov_b64 exec, s[90:91]                                   // 0000000095EC: BEFE015A
	buffer_load_dword v46, v254, s[20:23], 0 idxen             // 0000000095F0: E0502000 80052EFE
	s_mov_b32 exec_lo, -1                                      // 0000000095F8: BEFE00C1
	s_mov_b32 exec_hi, -1                                      // 0000000095FC: BEFF00C1
	v_mfma_f32_16x16x16_bf16 v[132:135], v[50:51], a[54:55], v[132:135]// 000000009600: D3E10084 16126D32
	v_mov_b32_dpp v127, v124 quad_perm:[3,3,3,3] row_mask:0xf bank_mask:0xf// 000000009608: 7EFE02FA FF00FF7C
	v_mov_b32_dpp v126, v124 quad_perm:[2,2,2,2] row_mask:0xf bank_mask:0xf// 000000009610: 7EFC02FA FF00AA7C
	v_mfma_f32_16x16x16_bf16 v[132:135], v[52:53], a[58:59], v[132:135]// 000000009618: D3E10084 16127534
	ds_read_b128 v[104:107], v10 offset:11392                  // 000000009620: D9FE2C80 6800000A
	v_mov_b32_e32 v47, 0                                       // 000000009628: 7E5E0280
	s_mov_b64 exec, s[90:91]                                   // 00000000962C: BEFE015A
	buffer_load_dword v47, v255, s[20:23], 0 idxen             // 000000009630: E0502000 80052FFF
	s_mov_b32 exec_lo, -1                                      // 000000009638: BEFE00C1
	s_mov_b32 exec_hi, -1                                      // 00000000963C: BEFF00C1
	v_mfma_f32_16x16x16_bf16 v[132:135], v[54:55], a[62:63], v[132:135]// 000000009640: D3E10084 16127D36
	v_mov_b32_dpp v125, v124 quad_perm:[1,1,1,1] row_mask:0xf bank_mask:0xf// 000000009648: 7EFA02FA FF00557C
	v_mov_b32_dpp v124, v124 quad_perm:[0,0,0,0] row_mask:0xf bank_mask:0xf// 000000009650: 7EF802FA FF00007C
	s_add_u32 s60, 64, s59                                     // 000000009658: 803C3BC0
	v_mfma_f32_16x16x16_bf16 v[132:135], v[56:57], a[66:67], v[132:135]// 00000000965C: D3E10084 16128538
	buffer_load_dword v9, s[24:27], 0 idxen lds                // 000000009664: E0512000 80060009
	v_mfma_f32_16x16x16_bf16 v[132:135], v[58:59], a[70:71], v[132:135]// 00000000966C: D3E10084 16128D3A
	s_cmp_lt_u32 s60, s58                                      // 000000009674: BF0A3A3C
	s_cselect_b32 s68, s68, 0                                  // 000000009678: 85448044
	s_cselect_b32 s99, s99, 0                                  // 00000000967C: 85638063
	s_cselect_b32 s69, s69, 0                                  // 000000009680: 85458045
	v_mfma_f32_16x16x16_bf16 v[132:135], v[60:61], a[74:75], v[132:135]// 000000009684: D3E10084 1612953C
	v_add_u32_e32 v1, s68, v1                                  // 00000000968C: 68020244
	v_add_u32_e32 v2, s68, v2                                  // 000000009690: 68040444
	v_add_u32_e32 v3, s68, v3                                  // 000000009694: 68060644
	;; [unrolled: 1-line block ×3, first 2 shown]
	v_mfma_f32_16x16x16_bf16 v[132:135], v[62:63], a[78:79], v[132:135]// 00000000969C: D3E10084 16129D3E
	v_add_u32_e32 v252, s99, v252                              // 0000000096A4: 69F9F863
	v_add_u32_e32 v253, s99, v253                              // 0000000096A8: 69FBFA63
	v_add_u32_e32 v254, s99, v254                              // 0000000096AC: 69FDFC63
	v_add_u32_e32 v255, s99, v255                              // 0000000096B0: 69FFFE63
	v_mfma_f32_16x16x16_bf16 v[132:135], v[64:65], a[82:83], v[132:135]// 0000000096B4: D3E10084 1612A540
	s_mov_b32 m0, s80                                          // 0000000096BC: BEFC0050
	v_add_u32_e32 v9, s69, v9                                  // 0000000096C0: 68121245
	v_mfma_f32_16x16x16_bf16 v[132:135], v[66:67], a[86:87], v[132:135]// 0000000096C4: D3E10084 1612AD42
	s_cmp_ge_u32 s59, s73                                      // 0000000096CC: BF09493B
	s_cselect_b32 s66, s67, s66                                // 0000000096D0: 85424243
	v_mfma_f32_16x16x16_bf16 v[132:135], v[68:69], a[90:91], v[132:135]// 0000000096D4: D3E10084 1612B544
	s_addk_i32 s59, 0x10                                       // 0000000096DC: B73B0010
	s_nop 0                                                    // 0000000096E0: BF800000
	s_cmp_lt_i32 s59, s58                                      // 0000000096E4: BF043A3B
	v_mfma_f32_16x16x16_bf16 v[132:135], v[70:71], a[94:95], v[132:135]// 0000000096E8: D3E10084 1612BD46
	s_cbranch_scc0 label_1253                                  // 0000000096F0: BF84FC0C
	s_waitcnt lgkmcnt(0)                                       // 0000000096F4: BF8CC07F
	s_barrier                                                  // 0000000096F8: BF8A0000
	v_mfma_f32_16x16x16_bf16 v[48:51], a[144:145], a[0:1], 0   // 0000000096FC: D3E10030 1A020190
	v_mul_f32_e32 v128, s47, v128                              // 000000009704: 0B01002F
	v_mul_f32_e32 v129, s47, v129                              // 000000009708: 0B03022F
	v_mfma_f32_16x16x16_bf16 v[48:51], a[146:147], a[2:3], v[48:51]// 00000000970C: D3E10030 1CC20592
	ds_write_b32 v11, v40 offset:8704                          // 000000009714: D81A2200 0000280B
	ds_write_b32 v11, v41 offset:9760                          // 00000000971C: D81A2620 0000290B
	v_mfma_f32_16x16x16_bf16 v[48:51], a[148:149], a[4:5], v[48:51]// 000000009724: D3E10030 1CC20994
	v_mul_f32_e32 v130, s47, v130                              // 00000000972C: 0B05042F
	v_mul_f32_e32 v131, s47, v131                              // 000000009730: 0B07062F
	v_mfma_f32_16x16x16_bf16 v[48:51], a[150:151], a[6:7], v[48:51]// 000000009734: D3E10030 1CC20D96
	ds_write_b32 v11, v42 offset:8832                          // 00000000973C: D81A2280 00002A0B
	ds_write_b32 v11, v43 offset:9888                          // 000000009744: D81A26A0 00002B0B
	v_mfma_f32_16x16x16_bf16 v[48:51], a[152:153], a[8:9], v[48:51]// 00000000974C: D3E10030 1CC21198
	v_mul_f32_e32 v132, s47, v132                              // 000000009754: 0B09082F
	v_mul_f32_e32 v133, s47, v133                              // 000000009758: 0B0B0A2F
	v_mfma_f32_16x16x16_bf16 v[48:51], a[154:155], a[10:11], v[48:51]// 00000000975C: D3E10030 1CC2159A
	ds_write_b64 v20, v[128:129] offset:24320                  // 000000009764: D89A5F00 00008014
	v_mfma_f32_16x16x16_bf16 v[48:51], a[156:157], a[12:13], v[48:51]// 00000000976C: D3E10030 1CC2199C
	v_mul_f32_e32 v134, s47, v134                              // 000000009774: 0B0D0C2F
	v_mul_f32_e32 v135, s47, v135                              // 000000009778: 0B0F0E2F
	v_mfma_f32_16x16x16_bf16 v[48:51], a[158:159], a[14:15], v[48:51]// 00000000977C: D3E10030 1CC21D9E
	ds_write_b64 v20, v[130:131] offset:24832                  // 000000009784: D89A6100 00008214
	v_mfma_f32_16x16x16_bf16 v[52:55], a[144:145], a[16:17], 0 // 00000000978C: D3E10034 1A022190
	buffer_atomic_add_f32 v140, v7, s[32:35], 0 offen offset:256// 000000009794: E1341100 80088C07
	v_mfma_f32_16x16x16_bf16 v[52:55], a[146:147], a[18:19], v[52:55]// 00000000979C: D3E10034 1CD22592
	ds_write_b64 v20, v[132:133] offset:25344                  // 0000000097A4: D89A6300 00008414
	v_mfma_f32_16x16x16_bf16 v[52:55], a[148:149], a[20:21], v[52:55]// 0000000097AC: D3E10034 1CD22994
	v_mfma_f32_16x16x16_bf16 v[52:55], a[150:151], a[22:23], v[52:55]// 0000000097B4: D3E10034 1CD22D96
	ds_write_b64 v20, v[134:135] offset:25856                  // 0000000097BC: D89A6500 00008614
	v_mfma_f32_16x16x16_bf16 v[52:55], a[152:153], a[24:25], v[52:55]// 0000000097C4: D3E10034 1CD23198
	buffer_atomic_add_f32 v141, v8, s[32:35], 0 offen offset:256// 0000000097CC: E1341100 80088D08
	v_mfma_f32_16x16x16_bf16 v[52:55], a[154:155], a[26:27], v[52:55]// 0000000097D4: D3E10034 1CD2359A
	ds_read_b128 v[108:111], v12 offset:13056                  // 0000000097DC: D9FE3300 6C00000C
	ds_write_b32 v11, v32                                      // 0000000097E4: D81A0000 0000200B
	v_mfma_f32_16x16x16_bf16 v[52:55], a[156:157], a[28:29], v[52:55]// 0000000097EC: D3E10034 1CD2399C
	v_mfma_f32_16x16x16_bf16 v[52:55], a[158:159], a[30:31], v[52:55]// 0000000097F4: D3E10034 1CD23D9E
	v_mfma_f32_16x16x16_bf16 v[56:59], a[144:145], a[32:33], 0 // 0000000097FC: D3E10038 1A024190
	ds_read_b128 v[112:115], v12 offset:13568                  // 000000009804: D9FE3500 7000000C
	ds_write_b32 v11, v33 offset:1056                          // 00000000980C: D81A0420 0000210B
	v_mfma_f32_16x16x16_bf16 v[56:59], a[146:147], a[34:35], v[56:59]// 000000009814: D3E10038 1CE24592
	buffer_atomic_add_f32 v142, v7, s[32:35], 0 offen offset:384// 00000000981C: E1341180 80088E07
	v_mfma_f32_16x16x16_bf16 v[56:59], a[148:149], a[36:37], v[56:59]// 000000009824: D3E10038 1CE24994
	v_mfma_f32_16x16x16_bf16 v[56:59], a[150:151], a[38:39], v[56:59]// 00000000982C: D3E10038 1CE24D96
	ds_read_b128 v[116:119], v12 offset:15232                  // 000000009834: D9FE3B80 7400000C
	ds_write_b32 v11, v34 offset:128                           // 00000000983C: D81A0080 0000220B
	v_mfma_f32_16x16x16_bf16 v[56:59], a[152:153], a[40:41], v[56:59]// 000000009844: D3E10038 1CE25198
	v_mfma_f32_16x16x16_bf16 v[56:59], a[154:155], a[42:43], v[56:59]// 00000000984C: D3E10038 1CE2559A
	buffer_atomic_add_f32 v143, v8, s[32:35], 0 offen offset:384// 000000009854: E1341180 80088F08
	v_mfma_f32_16x16x16_bf16 v[56:59], a[156:157], a[44:45], v[56:59]// 00000000985C: D3E10038 1CE2599C
	ds_read_b128 v[120:123], v12 offset:15744                  // 000000009864: D9FE3D80 7800000C
	ds_write_b32 v11, v35 offset:1184                          // 00000000986C: D81A04A0 0000230B
	v_mfma_f32_16x16x16_bf16 v[56:59], a[158:159], a[46:47], v[56:59]// 000000009874: D3E10038 1CE25D9E
	s_cmp_lt_i32 s74, 12                                       // 00000000987C: BF048C4A
	s_cbranch_scc0 label_1725                                  // 000000009880: BF840075
	s_mov_b32 s60, 0xffe0fffe                                  // 000000009884: BEBC00FF FFE0FFFE
	s_mov_b32 s61, 0xe000fe00                                  // 00000000988C: BEBD00FF E000FE00
	s_nop 0                                                    // 000000009894: BF800000
	s_add_u32 s62, 0, s46                                      // 000000009898: 803E2E80
	s_cmp_lt_i32 s74, s62                                      // 00000000989C: BF043E4A
	s_cbranch_scc1 label_16E0                                  // 0000000098A0: BF850028
	s_cmp_eq_i32 s74, s62                                      // 0000000098A4: BF003E4A
	s_cbranch_scc1 label_16C5                                  // 0000000098A8: BF85000B
	s_add_u32 s62, 4, s46                                      // 0000000098AC: 803E2E84
	s_cmp_lt_i32 s74, s62                                      // 0000000098B0: BF043E4A
	s_cbranch_scc1 label_1700                                  // 0000000098B4: BF850043
	s_cmp_eq_i32 s74, s62                                      // 0000000098B8: BF003E4A
	s_cbranch_scc1 label_16E5                                  // 0000000098BC: BF850026
	s_add_u32 s62, 8, s46                                      // 0000000098C0: 803E2E88
	s_cmp_lt_i32 s74, s62                                      // 0000000098C4: BF043E4A
	s_cbranch_scc1 label_1720                                  // 0000000098C8: BF85005E
	s_cmp_eq_i32 s74, s62                                      // 0000000098CC: BF003E4A
	s_cbranch_scc1 label_1705                                  // 0000000098D0: BF850041
	s_branch label_1725                                        // 0000000098D4: BF820060

00000000000098d8 <label_16C5>:
	v_cndmask_b32_e64 v48, v48, v151, s[60:61]                 // 0000000098D8: D1000030 00F32F30
	s_lshl_b32 s60, s60, 1                                     // 0000000098E0: 8E3C813C
	s_lshl_b32 s61, s61, 1                                     // 0000000098E4: 8E3D813D
	s_and_b32 s60, 0xfffeffff, s60                             // 0000000098E8: 863C3CFF FFFEFFFF
	s_and_b32 s61, 0xfffeffff, s61                             // 0000000098F0: 863D3DFF FFFEFFFF
	v_cndmask_b32_e64 v49, v49, v151, s[60:61]                 // 0000000098F8: D1000031 00F32F31
	s_lshl_b32 s60, s60, 1                                     // 000000009900: 8E3C813C
	s_lshl_b32 s61, s61, 1                                     // 000000009904: 8E3D813D
	s_and_b32 s60, 0xfffeffff, s60                             // 000000009908: 863C3CFF FFFEFFFF
	s_and_b32 s61, 0xfffeffff, s61                             // 000000009910: 863D3DFF FFFEFFFF
	v_cndmask_b32_e64 v50, v50, v151, s[60:61]                 // 000000009918: D1000032 00F32F32
	s_lshl_b32 s60, s60, 1                                     // 000000009920: 8E3C813C
	s_lshl_b32 s61, s61, 1                                     // 000000009924: 8E3D813D
	s_and_b32 s60, 0xfffeffff, s60                             // 000000009928: 863C3CFF FFFEFFFF
	s_and_b32 s61, 0xfffeffff, s61                             // 000000009930: 863D3DFF FFFEFFFF
	v_cndmask_b32_e64 v51, v51, v151, s[60:61]                 // 000000009938: D1000033 00F32F33
	s_branch label_1700                                        // 000000009940: BF820020

0000000000009944 <label_16E0>:
	v_mov_b32_e32 v48, v151                                    // 000000009944: 7E600397
	v_mov_b32_e32 v49, v151                                    // 000000009948: 7E620397
	v_mov_b32_e32 v50, v151                                    // 00000000994C: 7E640397
	v_mov_b32_e32 v51, v151                                    // 000000009950: 7E660397
	s_branch label_1700                                        // 000000009954: BF82001B

0000000000009958 <label_16E5>:
	v_cndmask_b32_e64 v52, v52, v151, s[60:61]                 // 000000009958: D1000034 00F32F34
	s_lshl_b32 s60, s60, 1                                     // 000000009960: 8E3C813C
	s_lshl_b32 s61, s61, 1                                     // 000000009964: 8E3D813D
	s_and_b32 s60, 0xfffeffff, s60                             // 000000009968: 863C3CFF FFFEFFFF
	s_and_b32 s61, 0xfffeffff, s61                             // 000000009970: 863D3DFF FFFEFFFF
	v_cndmask_b32_e64 v53, v53, v151, s[60:61]                 // 000000009978: D1000035 00F32F35
	s_lshl_b32 s60, s60, 1                                     // 000000009980: 8E3C813C
	s_lshl_b32 s61, s61, 1                                     // 000000009984: 8E3D813D
	s_and_b32 s60, 0xfffeffff, s60                             // 000000009988: 863C3CFF FFFEFFFF
	s_and_b32 s61, 0xfffeffff, s61                             // 000000009990: 863D3DFF FFFEFFFF
	v_cndmask_b32_e64 v54, v54, v151, s[60:61]                 // 000000009998: D1000036 00F32F36
	s_lshl_b32 s60, s60, 1                                     // 0000000099A0: 8E3C813C
	s_lshl_b32 s61, s61, 1                                     // 0000000099A4: 8E3D813D
	s_and_b32 s60, 0xfffeffff, s60                             // 0000000099A8: 863C3CFF FFFEFFFF
	s_and_b32 s61, 0xfffeffff, s61                             // 0000000099B0: 863D3DFF FFFEFFFF
	v_cndmask_b32_e64 v55, v55, v151, s[60:61]                 // 0000000099B8: D1000037 00F32F37
	s_branch label_1720                                        // 0000000099C0: BF820020

00000000000099c4 <label_1700>:
	v_mov_b32_e32 v52, v151                                    // 0000000099C4: 7E680397
	v_mov_b32_e32 v53, v151                                    // 0000000099C8: 7E6A0397
	v_mov_b32_e32 v54, v151                                    // 0000000099CC: 7E6C0397
	v_mov_b32_e32 v55, v151                                    // 0000000099D0: 7E6E0397
	s_branch label_1720                                        // 0000000099D4: BF82001B

00000000000099d8 <label_1705>:
	v_cndmask_b32_e64 v56, v56, v151, s[60:61]                 // 0000000099D8: D1000038 00F32F38
	s_lshl_b32 s60, s60, 1                                     // 0000000099E0: 8E3C813C
	s_lshl_b32 s61, s61, 1                                     // 0000000099E4: 8E3D813D
	s_and_b32 s60, 0xfffeffff, s60                             // 0000000099E8: 863C3CFF FFFEFFFF
	s_and_b32 s61, 0xfffeffff, s61                             // 0000000099F0: 863D3DFF FFFEFFFF
	v_cndmask_b32_e64 v57, v57, v151, s[60:61]                 // 0000000099F8: D1000039 00F32F39
	s_lshl_b32 s60, s60, 1                                     // 000000009A00: 8E3C813C
	s_lshl_b32 s61, s61, 1                                     // 000000009A04: 8E3D813D
	s_and_b32 s60, 0xfffeffff, s60                             // 000000009A08: 863C3CFF FFFEFFFF
	s_and_b32 s61, 0xfffeffff, s61                             // 000000009A10: 863D3DFF FFFEFFFF
	v_cndmask_b32_e64 v58, v58, v151, s[60:61]                 // 000000009A18: D100003A 00F32F3A
	s_lshl_b32 s60, s60, 1                                     // 000000009A20: 8E3C813C
	s_lshl_b32 s61, s61, 1                                     // 000000009A24: 8E3D813D
	s_and_b32 s60, 0xfffeffff, s60                             // 000000009A28: 863C3CFF FFFEFFFF
	s_and_b32 s61, 0xfffeffff, s61                             // 000000009A30: 863D3DFF FFFEFFFF
	v_cndmask_b32_e64 v59, v59, v151, s[60:61]                 // 000000009A38: D100003B 00F32F3B
	s_branch label_1725                                        // 000000009A40: BF820005

0000000000009a44 <label_1720>:
	v_mov_b32_e32 v56, v151                                    // 000000009A44: 7E700397
	v_mov_b32_e32 v57, v151                                    // 000000009A48: 7E720397
	v_mov_b32_e32 v58, v151                                    // 000000009A4C: 7E740397
	v_mov_b32_e32 v59, v151                                    // 000000009A50: 7E760397
	s_branch label_1725                                        // 000000009A54: BF820000

0000000000009a58 <label_1725>:
	s_cmp_lt_i32 s100, 0xc0                                    // 000000009A58: BF04FF64 000000C0
	s_cbranch_scc0 label_177A                                  // 000000009A60: BF84004D
	s_cmp_le_i32 s100, 64                                      // 000000009A64: BF05C064
	s_cbranch_scc1 label_1731                                  // 000000009A68: BF850007
	s_cmp_le_i32 s100, 0x80                                    // 000000009A6C: BF05FF64 00000080
	s_cbranch_scc1 label_1749                                  // 000000009A74: BF850017
	s_cmp_lt_i32 s100, 0xc0                                    // 000000009A78: BF04FF64 000000C0
	s_cbranch_scc1 label_1761                                  // 000000009A80: BF85002C
	s_branch label_177A                                        // 000000009A84: BF820044

0000000000009a88 <label_1731>:
	s_mov_b32 s60, 0                                           // 000000009A88: BEBC0080
	v_and_b32_e32 v28, 15, v0                                  // 000000009A8C: 2638008F
	v_add_u32_e64 v28, v28, s60                                // 000000009A90: D134001C 0000791C
	v_mul_i32_i24_e64 v29, s46, 16                             // 000000009A98: D106001D 0001202E
	v_add_u32_e32 v28, v28, v29                                // 000000009AA0: 68383B1C
	v_cmp_lt_u32_e64 s[60:61], v28, s100                       // 000000009AA4: D0C9003C 0000C91C
	s_nop 1                                                    // 000000009AAC: BF800001
	v_cndmask_b32_e64 v48, v151, v48, s[60:61]                 // 000000009AB0: D1000030 00F26197
	v_cndmask_b32_e64 v49, v151, v49, s[60:61]                 // 000000009AB8: D1000031 00F26397
	v_cndmask_b32_e64 v50, v151, v50, s[60:61]                 // 000000009AC0: D1000032 00F26597
	v_cndmask_b32_e64 v51, v151, v51, s[60:61]                 // 000000009AC8: D1000033 00F26797
	s_branch label_175C                                        // 000000009AD0: BF820013

0000000000009ad4 <label_1749>:
	s_mov_b32 s60, 64                                          // 000000009AD4: BEBC00C0
	v_and_b32_e32 v28, 15, v0                                  // 000000009AD8: 2638008F
	v_add_u32_e64 v28, v28, s60                                // 000000009ADC: D134001C 0000791C
	v_mul_i32_i24_e64 v29, s46, 16                             // 000000009AE4: D106001D 0001202E
	v_add_u32_e32 v28, v28, v29                                // 000000009AEC: 68383B1C
	v_cmp_lt_u32_e64 s[60:61], v28, s100                       // 000000009AF0: D0C9003C 0000C91C
	s_nop 1                                                    // 000000009AF8: BF800001
	v_cndmask_b32_e64 v52, v151, v52, s[60:61]                 // 000000009AFC: D1000034 00F26997
	v_cndmask_b32_e64 v53, v151, v53, s[60:61]                 // 000000009B04: D1000035 00F26B97
	v_cndmask_b32_e64 v54, v151, v54, s[60:61]                 // 000000009B0C: D1000036 00F26D97
	v_cndmask_b32_e64 v55, v151, v55, s[60:61]                 // 000000009B14: D1000037 00F26F97
	s_branch label_1775                                        // 000000009B1C: BF820019

0000000000009b20 <label_175C>:
	v_mov_b32_e32 v52, v151                                    // 000000009B20: 7E680397
	v_mov_b32_e32 v53, v151                                    // 000000009B24: 7E6A0397
	v_mov_b32_e32 v54, v151                                    // 000000009B28: 7E6C0397
	v_mov_b32_e32 v55, v151                                    // 000000009B2C: 7E6E0397
	s_branch label_1775                                        // 000000009B30: BF820014

0000000000009b34 <label_1761>:
	s_mov_b32 s60, 0x80                                        // 000000009B34: BEBC00FF 00000080
	v_and_b32_e32 v28, 15, v0                                  // 000000009B3C: 2638008F
	v_add_u32_e64 v28, v28, s60                                // 000000009B40: D134001C 0000791C
	v_mul_i32_i24_e64 v29, s46, 16                             // 000000009B48: D106001D 0001202E
	v_add_u32_e32 v28, v28, v29                                // 000000009B50: 68383B1C
	v_cmp_lt_u32_e64 s[60:61], v28, s100                       // 000000009B54: D0C9003C 0000C91C
	s_nop 1                                                    // 000000009B5C: BF800001
	v_cndmask_b32_e64 v56, v151, v56, s[60:61]                 // 000000009B60: D1000038 00F27197
	v_cndmask_b32_e64 v57, v151, v57, s[60:61]                 // 000000009B68: D1000039 00F27397
	v_cndmask_b32_e64 v58, v151, v58, s[60:61]                 // 000000009B70: D100003A 00F27597
	v_cndmask_b32_e64 v59, v151, v59, s[60:61]                 // 000000009B78: D100003B 00F27797
	s_branch label_177A                                        // 000000009B80: BF820005

0000000000009b84 <label_1775>:
	v_mov_b32_e32 v56, v151                                    // 000000009B84: 7E700397
	v_mov_b32_e32 v57, v151                                    // 000000009B88: 7E720397
	v_mov_b32_e32 v58, v151                                    // 000000009B8C: 7E740397
	v_mov_b32_e32 v59, v151                                    // 000000009B90: 7E760397
	s_branch label_177A                                        // 000000009B94: BF820000

0000000000009b98 <label_177A>:
	s_addk_i32 s74, 0x1                                        // 000000009B98: B74A0001
	s_waitcnt lgkmcnt(8)                                       // 000000009B9C: BF8CC87F
	s_barrier                                                  // 000000009BA0: BF8A0000
	v_mfma_f32_16x16x16_bf16 v[72:75], v[92:93], a[96:97], 0   // 000000009BA4: D3E10048 1202C15C
	v_fma_f32 v48, v48, s57, -v124                             // 000000009BAC: D1CB0030 85F07330
	v_fma_f32 v49, v49, s57, -v125                             // 000000009BB4: D1CB0031 85F47331
	v_fma_f32 v50, v50, s57, -v126                             // 000000009BBC: D1CB0032 85F87332
	v_mfma_f32_16x16x16_bf16 v[72:75], v[94:95], a[98:99], v[72:75]// 000000009BC4: D3E10048 1522C55E
	ds_read_b128 a[144:147], v12 offset:4352                   // 000000009BCC: DBFE1100 9000000C
	ds_read_b128 a[148:151], v12 offset:4864                   // 000000009BD4: DBFE1300 9400000C
	v_mfma_f32_16x16x16_bf16 v[72:75], v[96:97], a[100:101], v[72:75]// 000000009BDC: D3E10048 1522C960
	v_fma_f32 v51, v51, s57, -v127                             // 000000009BE4: D1CB0033 85FC7333
	v_fma_f32 v52, v52, s57, -v124                             // 000000009BEC: D1CB0034 85F07334
	v_fma_f32 v53, v53, s57, -v125                             // 000000009BF4: D1CB0035 85F47335
	v_mfma_f32_16x16x16_bf16 v[72:75], v[98:99], a[102:103], v[72:75]// 000000009BFC: D3E10048 1522CD62
	v_fma_f32 v54, v54, s57, -v126                             // 000000009C04: D1CB0036 85F87336
	v_fma_f32 v55, v55, s57, -v127                             // 000000009C0C: D1CB0037 85FC7337
	v_fma_f32 v56, v56, s57, -v124                             // 000000009C14: D1CB0038 85F07338
	v_mfma_f32_16x16x16_bf16 v[72:75], v[100:101], a[104:105], v[72:75]// 000000009C1C: D3E10048 1522D164
	v_fma_f32 v57, v57, s57, -v125                             // 000000009C24: D1CB0039 85F47339
	v_fma_f32 v58, v58, s57, -v126                             // 000000009C2C: D1CB003A 85F8733A
	v_fma_f32 v59, v59, s57, -v127                             // 000000009C34: D1CB003B 85FC733B
	v_mfma_f32_16x16x16_bf16 v[72:75], v[102:103], a[106:107], v[72:75]// 000000009C3C: D3E10048 1522D566
	ds_read_b128 a[152:155], v12 offset:6528                   // 000000009C44: DBFE1980 9800000C
	ds_read_b128 a[156:159], v12 offset:7040                   // 000000009C4C: DBFE1B80 9C00000C
	v_mfma_f32_16x16x16_bf16 v[72:75], v[104:105], a[108:109], v[72:75]// 000000009C54: D3E10048 1522D968
	v_exp_f32_e32 v48, v48                                     // 000000009C5C: 7E604130
	v_mfma_f32_16x16x16_bf16 v[72:75], v[106:107], a[110:111], v[72:75]// 000000009C60: D3E10048 1522DD6A
	v_exp_f32_e32 v49, v49                                     // 000000009C68: 7E624131
	v_mfma_f32_16x16x16_bf16 v[76:79], v[92:93], a[112:113], 0 // 000000009C6C: D3E1004C 1202E15C
	v_exp_f32_e32 v50, v50                                     // 000000009C74: 7E644132
	v_mfma_f32_16x16x16_bf16 v[76:79], v[94:95], a[114:115], v[76:79]// 000000009C78: D3E1004C 1532E55E
	ds_read_b64 v[136:137], v19 offset:24320                   // 000000009C80: D8EC5F00 88000013
	ds_read_b64 v[138:139], v19 offset:26368                   // 000000009C88: D8EC6700 8A000013
	v_mfma_f32_16x16x16_bf16 v[76:79], v[96:97], a[116:117], v[76:79]// 000000009C90: D3E1004C 1532E960
	v_exp_f32_e32 v51, v51                                     // 000000009C98: 7E664133
	v_mfma_f32_16x16x16_bf16 v[76:79], v[98:99], a[118:119], v[76:79]// 000000009C9C: D3E1004C 1532ED62
	ds_read_b64 v[140:141], v19 offset:28416                   // 000000009CA4: D8EC6F00 8C000013
	ds_read_b64 v[142:143], v19 offset:30464                   // 000000009CAC: D8EC7700 8E000013
	v_mfma_f32_16x16x16_bf16 v[76:79], v[100:101], a[120:121], v[76:79]// 000000009CB4: D3E1004C 1532F164
	v_exp_f32_e32 v52, v52                                     // 000000009CBC: 7E684134
	v_mfma_f32_16x16x16_bf16 v[76:79], v[102:103], a[122:123], v[76:79]// 000000009CC0: D3E1004C 1532F566
	v_exp_f32_e32 v53, v53                                     // 000000009CC8: 7E6A4135
	v_mfma_f32_16x16x16_bf16 v[76:79], v[104:105], a[124:125], v[76:79]// 000000009CCC: D3E1004C 1532F968
	v_exp_f32_e32 v54, v54                                     // 000000009CD4: 7E6C4136
	v_mfma_f32_16x16x16_bf16 v[76:79], v[106:107], a[126:127], v[76:79]// 000000009CD8: D3E1004C 1532FD6A
	v_exp_f32_e32 v55, v55                                     // 000000009CE0: 7E6E4137
	v_mfma_f32_16x16x16_bf16 v[80:83], v[92:93], a[128:129], 0 // 000000009CE4: D3E10050 1203015C
	v_exp_f32_e32 v56, v56                                     // 000000009CEC: 7E704138
	v_mfma_f32_16x16x16_bf16 v[80:83], v[94:95], a[130:131], v[80:83]// 000000009CF0: D3E10050 1543055E
	v_exp_f32_e32 v57, v57                                     // 000000009CF8: 7E724139
	v_mfma_f32_16x16x16_bf16 v[80:83], v[96:97], a[132:133], v[80:83]// 000000009CFC: D3E10050 15430960
	v_exp_f32_e32 v58, v58                                     // 000000009D04: 7E74413A
	v_mfma_f32_16x16x16_bf16 v[80:83], v[98:99], a[134:135], v[80:83]// 000000009D08: D3E10050 15430D62
	v_exp_f32_e32 v59, v59                                     // 000000009D10: 7E76413B
	v_mfma_f32_16x16x16_bf16 v[80:83], v[100:101], a[136:137], v[80:83]// 000000009D14: D3E10050 15431164
	v_cmp_u_f32_e64 s[78:79], v48, v48                         // 000000009D1C: D048004E 00026130
	v_bfe_u32 v248, v48, 16, 1                                 // 000000009D24: D1C800F8 02052130
	v_add3_u32 v248, v48, v248, v251                           // 000000009D2C: D1FF00F8 07EFF130
	v_cndmask_b32_e64 v28, v248, v250, s[78:79]                // 000000009D34: D100001C 013BF5F8
	v_lshrrev_b32_e32 v28, 16, v28                             // 000000009D3C: 20383890
	v_cmp_u_f32_e64 s[78:79], v49, v49                         // 000000009D40: D048004E 00026331
	v_bfe_u32 v248, v49, 16, 1                                 // 000000009D48: D1C800F8 02052131
	v_add3_u32 v248, v49, v248, v251                           // 000000009D50: D1FF00F8 07EFF131
	v_cndmask_b32_e64 v29, v248, v250, s[78:79]                // 000000009D58: D100001D 013BF5F8
	v_and_or_b32 v144, v29, v249, v28                          // 000000009D60: D2010090 0473F31D
	v_cmp_u_f32_e64 s[78:79], v50, v50                         // 000000009D68: D048004E 00026532
	v_bfe_u32 v248, v50, 16, 1                                 // 000000009D70: D1C800F8 02052132
	v_add3_u32 v248, v50, v248, v251                           // 000000009D78: D1FF00F8 07EFF132
	v_cndmask_b32_e64 v28, v248, v250, s[78:79]                // 000000009D80: D100001C 013BF5F8
	v_lshrrev_b32_e32 v28, 16, v28                             // 000000009D88: 20383890
	v_cmp_u_f32_e64 s[78:79], v51, v51                         // 000000009D8C: D048004E 00026733
	v_bfe_u32 v248, v51, 16, 1                                 // 000000009D94: D1C800F8 02052133
	v_add3_u32 v248, v51, v248, v251                           // 000000009D9C: D1FF00F8 07EFF133
	v_cndmask_b32_e64 v29, v248, v250, s[78:79]                // 000000009DA4: D100001D 013BF5F8
	v_and_or_b32 v145, v29, v249, v28                          // 000000009DAC: D2010091 0473F31D
	v_cmp_u_f32_e64 s[78:79], v52, v52                         // 000000009DB4: D048004E 00026934
	v_bfe_u32 v248, v52, 16, 1                                 // 000000009DBC: D1C800F8 02052134
	v_add3_u32 v248, v52, v248, v251                           // 000000009DC4: D1FF00F8 07EFF134
	v_cndmask_b32_e64 v28, v248, v250, s[78:79]                // 000000009DCC: D100001C 013BF5F8
	v_lshrrev_b32_e32 v28, 16, v28                             // 000000009DD4: 20383890
	v_cmp_u_f32_e64 s[78:79], v53, v53                         // 000000009DD8: D048004E 00026B35
	v_bfe_u32 v248, v53, 16, 1                                 // 000000009DE0: D1C800F8 02052135
	v_add3_u32 v248, v53, v248, v251                           // 000000009DE8: D1FF00F8 07EFF135
	v_cndmask_b32_e64 v29, v248, v250, s[78:79]                // 000000009DF0: D100001D 013BF5F8
	v_and_or_b32 v146, v29, v249, v28                          // 000000009DF8: D2010092 0473F31D
	v_mfma_f32_16x16x16_bf16 v[80:83], v[102:103], a[138:139], v[80:83]// 000000009E00: D3E10050 15431566
	v_cmp_u_f32_e64 s[78:79], v54, v54                         // 000000009E08: D048004E 00026D36
	v_bfe_u32 v248, v54, 16, 1                                 // 000000009E10: D1C800F8 02052136
	v_add3_u32 v248, v54, v248, v251                           // 000000009E18: D1FF00F8 07EFF136
	v_cndmask_b32_e64 v28, v248, v250, s[78:79]                // 000000009E20: D100001C 013BF5F8
	v_lshrrev_b32_e32 v28, 16, v28                             // 000000009E28: 20383890
	v_cmp_u_f32_e64 s[78:79], v55, v55                         // 000000009E2C: D048004E 00026F37
	v_bfe_u32 v248, v55, 16, 1                                 // 000000009E34: D1C800F8 02052137
	v_add3_u32 v248, v55, v248, v251                           // 000000009E3C: D1FF00F8 07EFF137
	v_cndmask_b32_e64 v29, v248, v250, s[78:79]                // 000000009E44: D100001D 013BF5F8
	v_and_or_b32 v147, v29, v249, v28                          // 000000009E4C: D2010093 0473F31D
	v_cmp_u_f32_e64 s[78:79], v56, v56                         // 000000009E54: D048004E 00027138
	v_bfe_u32 v248, v56, 16, 1                                 // 000000009E5C: D1C800F8 02052138
	v_add3_u32 v248, v56, v248, v251                           // 000000009E64: D1FF00F8 07EFF138
	v_cndmask_b32_e64 v28, v248, v250, s[78:79]                // 000000009E6C: D100001C 013BF5F8
	v_lshrrev_b32_e32 v28, 16, v28                             // 000000009E74: 20383890
	v_cmp_u_f32_e64 s[78:79], v57, v57                         // 000000009E78: D048004E 00027339
	v_bfe_u32 v248, v57, 16, 1                                 // 000000009E80: D1C800F8 02052139
	v_add3_u32 v248, v57, v248, v251                           // 000000009E88: D1FF00F8 07EFF139
	v_cndmask_b32_e64 v29, v248, v250, s[78:79]                // 000000009E90: D100001D 013BF5F8
	v_and_or_b32 v148, v29, v249, v28                          // 000000009E98: D2010094 0473F31D
	v_cmp_u_f32_e64 s[78:79], v58, v58                         // 000000009EA0: D048004E 0002753A
	v_bfe_u32 v248, v58, 16, 1                                 // 000000009EA8: D1C800F8 0205213A
	v_add3_u32 v248, v58, v248, v251                           // 000000009EB0: D1FF00F8 07EFF13A
	v_cndmask_b32_e64 v28, v248, v250, s[78:79]                // 000000009EB8: D100001C 013BF5F8
	v_lshrrev_b32_e32 v28, 16, v28                             // 000000009EC0: 20383890
	v_cmp_u_f32_e64 s[78:79], v59, v59                         // 000000009EC4: D048004E 0002773B
	v_bfe_u32 v248, v59, 16, 1                                 // 000000009ECC: D1C800F8 0205213B
	v_add3_u32 v248, v59, v248, v251                           // 000000009ED4: D1FF00F8 07EFF13B
	v_cndmask_b32_e64 v29, v248, v250, s[78:79]                // 000000009EDC: D100001D 013BF5F8
	v_and_or_b32 v149, v29, v249, v28                          // 000000009EE4: D2010095 0473F31D
	v_mfma_f32_16x16x16_bf16 v[80:83], v[104:105], a[140:141], v[80:83]// 000000009EEC: D3E10050 15431968
	v_add_u32_e32 v7, s66, v7                                  // 000000009EF4: 680E0E42
	v_add_u32_e32 v8, s66, v8                                  // 000000009EF8: 68101042
	v_mfma_f32_16x16x16_bf16 v[80:83], v[106:107], a[142:143], v[80:83]// 000000009EFC: D3E10050 15431D6A
	s_waitcnt lgkmcnt(0)                                       // 000000009F04: BF8CC07F
	s_barrier                                                  // 000000009F08: BF8A0000
	v_mfma_f32_16x16x16_bf16 v[152:155], v[108:109], v[144:145], v[152:155]// 000000009F0C: D3E10098 0663216C
	v_subrev_f32_dpp v72, v150, v72 quad_perm:[0,0,0,0] row_mask:0xf bank_mask:0xf// 000000009F14: 069090FA FF000096
	v_subrev_f32_dpp v73, v150, v73 quad_perm:[1,1,1,1] row_mask:0xf bank_mask:0xf// 000000009F1C: 069292FA FF005596
	v_subrev_f32_dpp v74, v150, v74 quad_perm:[2,2,2,2] row_mask:0xf bank_mask:0xf// 000000009F24: 069494FA FF00AA96
	v_mfma_f32_16x16x16_bf16 v[156:159], v[110:111], v[144:145], v[156:159]// 000000009F2C: D3E1009C 0673216E
	v_subrev_f32_dpp v75, v150, v75 quad_perm:[3,3,3,3] row_mask:0xf bank_mask:0xf// 000000009F34: 069696FA FF00FF96
	v_subrev_f32_dpp v76, v150, v76 quad_perm:[0,0,0,0] row_mask:0xf bank_mask:0xf// 000000009F3C: 069898FA FF000096
	v_subrev_f32_dpp v77, v150, v77 quad_perm:[1,1,1,1] row_mask:0xf bank_mask:0xf// 000000009F44: 069A9AFA FF005596
	v_mfma_f32_16x16x16_bf16 v[160:163], v[112:113], v[144:145], v[160:163]// 000000009F4C: D3E100A0 06832170
	v_mul_f32_e32 v72, v48, v72                                // 000000009F54: 0A909130
	v_mul_f32_e32 v73, v49, v73                                // 000000009F58: 0A929331
	v_mul_f32_e32 v74, v50, v74                                // 000000009F5C: 0A949532
	v_mfma_f32_16x16x16_bf16 v[164:167], v[114:115], v[144:145], v[164:167]// 000000009F60: D3E100A4 06932172
	v_mul_f32_e32 v75, v51, v75                                // 000000009F68: 0A969733
	v_mul_f32_e32 v76, v52, v76                                // 000000009F6C: 0A989934
	v_mul_f32_e32 v77, v53, v77                                // 000000009F70: 0A9A9B35
	v_mfma_f32_16x16x16_bf16 v[168:171], v[116:117], v[144:145], v[168:171]// 000000009F74: D3E100A8 06A32174
	v_cmp_u_f32_e64 s[78:79], v72, v72                         // 000000009F7C: D048004E 00029148
	v_bfe_u32 v248, v72, 16, 1                                 // 000000009F84: D1C800F8 02052148
	v_add3_u32 v248, v72, v248, v251                           // 000000009F8C: D1FF00F8 07EFF148
	v_cndmask_b32_e64 v28, v248, v250, s[78:79]                // 000000009F94: D100001C 013BF5F8
	v_lshrrev_b32_e32 v28, 16, v28                             // 000000009F9C: 20383890
	v_cmp_u_f32_e64 s[78:79], v73, v73                         // 000000009FA0: D048004E 00029349
	v_bfe_u32 v248, v73, 16, 1                                 // 000000009FA8: D1C800F8 02052149
	v_add3_u32 v248, v73, v248, v251                           // 000000009FB0: D1FF00F8 07EFF149
	v_cndmask_b32_e64 v29, v248, v250, s[78:79]                // 000000009FB8: D100001D 013BF5F8
	v_and_or_b32 v72, v29, v249, v28                           // 000000009FC0: D2010048 0473F31D
	v_cmp_u_f32_e64 s[78:79], v74, v74                         // 000000009FC8: D048004E 0002954A
	v_bfe_u32 v248, v74, 16, 1                                 // 000000009FD0: D1C800F8 0205214A
	v_add3_u32 v248, v74, v248, v251                           // 000000009FD8: D1FF00F8 07EFF14A
	v_cndmask_b32_e64 v28, v248, v250, s[78:79]                // 000000009FE0: D100001C 013BF5F8
	v_lshrrev_b32_e32 v28, 16, v28                             // 000000009FE8: 20383890
	v_cmp_u_f32_e64 s[78:79], v75, v75                         // 000000009FEC: D048004E 0002974B
	v_bfe_u32 v248, v75, 16, 1                                 // 000000009FF4: D1C800F8 0205214B
	v_add3_u32 v248, v75, v248, v251                           // 000000009FFC: D1FF00F8 07EFF14B
	v_cndmask_b32_e64 v29, v248, v250, s[78:79]                // 00000000A004: D100001D 013BF5F8
	v_and_or_b32 v73, v29, v249, v28                           // 00000000A00C: D2010049 0473F31D
	v_cmp_u_f32_e64 s[78:79], v76, v76                         // 00000000A014: D048004E 0002994C
	v_bfe_u32 v248, v76, 16, 1                                 // 00000000A01C: D1C800F8 0205214C
	v_add3_u32 v248, v76, v248, v251                           // 00000000A024: D1FF00F8 07EFF14C
	v_cndmask_b32_e64 v28, v248, v250, s[78:79]                // 00000000A02C: D100001C 013BF5F8
	v_lshrrev_b32_e32 v28, 16, v28                             // 00000000A034: 20383890
	v_cmp_u_f32_e64 s[78:79], v77, v77                         // 00000000A038: D048004E 00029B4D
	v_bfe_u32 v248, v77, 16, 1                                 // 00000000A040: D1C800F8 0205214D
	v_add3_u32 v248, v77, v248, v251                           // 00000000A048: D1FF00F8 07EFF14D
	v_cndmask_b32_e64 v29, v248, v250, s[78:79]                // 00000000A050: D100001D 013BF5F8
	v_and_or_b32 v74, v29, v249, v28                           // 00000000A058: D201004A 0473F31D
	v_mfma_f32_16x16x16_bf16 v[172:175], v[118:119], v[144:145], v[172:175]// 00000000A060: D3E100AC 06B32176
	v_mov_b32_dpp v16, v72 quad_perm:[1,0,3,2] row_mask:0xf bank_mask:0xf// 00000000A068: 7E2002FA FF00B148
	v_perm_b32 v48, v16, v72, v15                              // 00000000A070: D1ED0030 043E9110
	v_mov_b32_dpp v16, v73 quad_perm:[1,0,3,2] row_mask:0xf bank_mask:0xf// 00000000A078: 7E2002FA FF00B149
	v_mfma_f32_16x16x16_bf16 v[176:179], v[120:121], v[144:145], v[176:179]// 00000000A080: D3E100B0 06C32178
	ds_write_b32 v18, v48 offset:17408                         // 00000000A088: D81A4400 00003012
	v_mfma_f32_16x16x16_bf16 v[180:183], v[122:123], v[144:145], v[180:183]// 00000000A090: D3E100B4 06D3217A
	v_perm_b32 v49, v16, v73, v15                              // 00000000A098: D1ED0031 043E9310
	v_mov_b32_dpp v16, v74 quad_perm:[1,0,3,2] row_mask:0xf bank_mask:0xf// 00000000A0A0: 7E2002FA FF00B14A
	v_perm_b32 v50, v16, v74, v15                              // 00000000A0A8: D1ED0032 043E9510
	v_mfma_f32_16x16x16_bf16 v[184:187], v[108:109], v[146:147], v[184:187]// 00000000A0B0: D3E100B8 06E3256C
	ds_write_b32 v18, v49 offset:17952                         // 00000000A0B8: D81A4620 00003112
	v_mfma_f32_16x16x16_bf16 v[188:191], v[110:111], v[146:147], v[188:191]// 00000000A0C0: D3E100BC 06F3256E
	v_subrev_f32_dpp v78, v150, v78 quad_perm:[2,2,2,2] row_mask:0xf bank_mask:0xf// 00000000A0C8: 069C9CFA FF00AA96
	v_subrev_f32_dpp v79, v150, v79 quad_perm:[3,3,3,3] row_mask:0xf bank_mask:0xf// 00000000A0D0: 069E9EFA FF00FF96
	v_subrev_f32_dpp v80, v150, v80 quad_perm:[0,0,0,0] row_mask:0xf bank_mask:0xf// 00000000A0D8: 06A0A0FA FF000096
	v_mfma_f32_16x16x16_bf16 v[192:195], v[112:113], v[146:147], v[192:195]// 00000000A0E0: D3E100C0 07032570
	ds_write_b32 v18, v50 offset:19712                         // 00000000A0E8: D81A4D00 00003212
	v_mfma_f32_16x16x16_bf16 v[196:199], v[114:115], v[146:147], v[196:199]// 00000000A0F0: D3E100C4 07132572
	v_subrev_f32_dpp v81, v150, v81 quad_perm:[1,1,1,1] row_mask:0xf bank_mask:0xf// 00000000A0F8: 06A2A2FA FF005596
	v_subrev_f32_dpp v82, v150, v82 quad_perm:[2,2,2,2] row_mask:0xf bank_mask:0xf// 00000000A100: 06A4A4FA FF00AA96
	v_subrev_f32_dpp v83, v150, v83 quad_perm:[3,3,3,3] row_mask:0xf bank_mask:0xf// 00000000A108: 06A6A6FA FF00FF96
	v_mfma_f32_16x16x16_bf16 v[200:203], v[116:117], v[146:147], v[200:203]// 00000000A110: D3E100C8 07232574
	v_mul_f32_e32 v78, v54, v78                                // 00000000A118: 0A9C9D36
	v_mul_f32_e32 v79, v55, v79                                // 00000000A11C: 0A9E9F37
	v_mul_f32_e32 v80, v56, v80                                // 00000000A120: 0AA0A138
	v_mfma_f32_16x16x16_bf16 v[204:207], v[118:119], v[146:147], v[204:207]// 00000000A124: D3E100CC 07332576
	v_mul_f32_e32 v81, v57, v81                                // 00000000A12C: 0AA2A339
	v_mul_f32_e32 v82, v58, v82                                // 00000000A130: 0AA4A53A
	v_mul_f32_e32 v83, v59, v83                                // 00000000A134: 0AA6A73B
	v_mfma_f32_16x16x16_bf16 v[208:211], v[120:121], v[146:147], v[208:211]// 00000000A138: D3E100D0 07432578
	v_cmp_u_f32_e64 s[78:79], v78, v78                         // 00000000A140: D048004E 00029D4E
	v_bfe_u32 v248, v78, 16, 1                                 // 00000000A148: D1C800F8 0205214E
	v_add3_u32 v248, v78, v248, v251                           // 00000000A150: D1FF00F8 07EFF14E
	v_cndmask_b32_e64 v28, v248, v250, s[78:79]                // 00000000A158: D100001C 013BF5F8
	v_lshrrev_b32_e32 v28, 16, v28                             // 00000000A160: 20383890
	v_cmp_u_f32_e64 s[78:79], v79, v79                         // 00000000A164: D048004E 00029F4F
	v_bfe_u32 v248, v79, 16, 1                                 // 00000000A16C: D1C800F8 0205214F
	v_add3_u32 v248, v79, v248, v251                           // 00000000A174: D1FF00F8 07EFF14F
	v_cndmask_b32_e64 v29, v248, v250, s[78:79]                // 00000000A17C: D100001D 013BF5F8
	v_and_or_b32 v75, v29, v249, v28                           // 00000000A184: D201004B 0473F31D
	v_cmp_u_f32_e64 s[78:79], v80, v80                         // 00000000A18C: D048004E 0002A150
	v_bfe_u32 v248, v80, 16, 1                                 // 00000000A194: D1C800F8 02052150
	v_add3_u32 v248, v80, v248, v251                           // 00000000A19C: D1FF00F8 07EFF150
	v_cndmask_b32_e64 v28, v248, v250, s[78:79]                // 00000000A1A4: D100001C 013BF5F8
	v_lshrrev_b32_e32 v28, 16, v28                             // 00000000A1AC: 20383890
	v_cmp_u_f32_e64 s[78:79], v81, v81                         // 00000000A1B0: D048004E 0002A351
	v_bfe_u32 v248, v81, 16, 1                                 // 00000000A1B8: D1C800F8 02052151
	v_add3_u32 v248, v81, v248, v251                           // 00000000A1C0: D1FF00F8 07EFF151
	v_cndmask_b32_e64 v29, v248, v250, s[78:79]                // 00000000A1C8: D100001D 013BF5F8
	v_and_or_b32 v76, v29, v249, v28                           // 00000000A1D0: D201004C 0473F31D
	v_cmp_u_f32_e64 s[78:79], v82, v82                         // 00000000A1D8: D048004E 0002A552
	v_bfe_u32 v248, v82, 16, 1                                 // 00000000A1E0: D1C800F8 02052152
	v_add3_u32 v248, v82, v248, v251                           // 00000000A1E8: D1FF00F8 07EFF152
	v_cndmask_b32_e64 v28, v248, v250, s[78:79]                // 00000000A1F0: D100001C 013BF5F8
	v_lshrrev_b32_e32 v28, 16, v28                             // 00000000A1F8: 20383890
	v_cmp_u_f32_e64 s[78:79], v83, v83                         // 00000000A1FC: D048004E 0002A753
	v_bfe_u32 v248, v83, 16, 1                                 // 00000000A204: D1C800F8 02052153
	v_add3_u32 v248, v83, v248, v251                           // 00000000A20C: D1FF00F8 07EFF153
	v_cndmask_b32_e64 v29, v248, v250, s[78:79]                // 00000000A214: D100001D 013BF5F8
	v_and_or_b32 v77, v29, v249, v28                           // 00000000A21C: D201004D 0473F31D
	v_mfma_f32_16x16x16_bf16 v[212:215], v[122:123], v[146:147], v[212:215]// 00000000A224: D3E100D4 0753257A
	v_mov_b32_dpp v16, v75 quad_perm:[1,0,3,2] row_mask:0xf bank_mask:0xf// 00000000A22C: 7E2002FA FF00B14B
	v_perm_b32 v51, v16, v75, v15                              // 00000000A234: D1ED0033 043E9710
	v_mov_b32_dpp v16, v76 quad_perm:[1,0,3,2] row_mask:0xf bank_mask:0xf// 00000000A23C: 7E2002FA FF00B14C
	v_mfma_f32_16x16x16_bf16 v[216:219], v[108:109], v[148:149], v[216:219]// 00000000A244: D3E100D8 0763296C
	ds_write_b32 v18, v51 offset:20256                         // 00000000A24C: D81A4F20 00003312
	v_mfma_f32_16x16x16_bf16 v[220:223], v[110:111], v[148:149], v[220:223]// 00000000A254: D3E100DC 0773296E
	v_perm_b32 v52, v16, v76, v15                              // 00000000A25C: D1ED0034 043E9910
	v_mov_b32_dpp v16, v77 quad_perm:[1,0,3,2] row_mask:0xf bank_mask:0xf// 00000000A264: 7E2002FA FF00B14D
	v_perm_b32 v53, v16, v77, v15                              // 00000000A26C: D1ED0035 043E9B10
	v_mfma_f32_16x16x16_bf16 v[224:227], v[112:113], v[148:149], v[224:227]// 00000000A274: D3E100E0 07832970
	ds_write_b32 v18, v52 offset:22016                         // 00000000A27C: D81A5600 00003412
	ds_write_b32 v18, v53 offset:22560                         // 00000000A284: D81A5820 00003512
	v_mfma_f32_16x16x16_bf16 v[228:231], v[114:115], v[148:149], v[228:231]// 00000000A28C: D3E100E4 07932972
	v_mfma_f32_16x16x16_bf16 v[232:235], v[116:117], v[148:149], v[232:235]// 00000000A294: D3E100E8 07A32974
	ds_write_b32 v13, v84 offset:4352                          // 00000000A29C: D81A1100 0000540D
	ds_write_b32 v13, v85 offset:5408                          // 00000000A2A4: D81A1520 0000550D
	v_mfma_f32_16x16x16_bf16 v[236:239], v[118:119], v[148:149], v[236:239]// 00000000A2AC: D3E100EC 07B32976
	v_mfma_f32_16x16x16_bf16 v[240:243], v[120:121], v[148:149], v[240:243]// 00000000A2B4: D3E100F0 07C32978
	ds_write_b32 v13, v86 offset:4480                          // 00000000A2BC: D81A1180 0000560D
	ds_write_b32 v13, v87 offset:5536                          // 00000000A2C4: D81A15A0 0000570D
	v_mfma_f32_16x16x16_bf16 v[244:247], v[122:123], v[148:149], v[244:247]// 00000000A2CC: D3E100F4 07D3297A
	s_nop 0                                                    // 00000000A2D4: BF800000
	s_nop 0                                                    // 00000000A2D8: BF800000
	s_nop 0                                                    // 00000000A2DC: BF800000
	s_barrier                                                  // 00000000A2E0: BF8A0000
	v_mfma_f32_16x16x16_bf16 a[160:163], a[144:145], v[72:73], a[160:163]// 00000000A2E4: D3E180A0 0E829190
	ds_read_b32 v124, v21 offset:50688                         // 00000000A2EC: D86CC600 7C000015
	ds_read_b32 v150, v21 offset:50944                         // 00000000A2F4: D86CC700 96000015
	v_mfma_f32_16x16x16_bf16 a[164:167], a[146:147], v[72:73], a[164:167]// 00000000A2FC: D3E180A4 0E929192
	buffer_atomic_add_f32 v136, v7, s[32:35], 0 offen          // 00000000A304: E1341000 80088807
	v_mfma_f32_16x16x16_bf16 a[168:171], a[148:149], v[72:73], a[168:171]// 00000000A30C: D3E180A8 0EA29194
	s_waitcnt lgkmcnt(6)                                       // 00000000A314: BF8CC67F
	s_barrier                                                  // 00000000A318: BF8A0000
	v_mfma_f32_16x16x16_bf16 a[172:175], a[150:151], v[72:73], a[172:175]// 00000000A31C: D3E180AC 0EB29196
	v_mfma_f32_16x16x16_bf16 a[176:179], a[152:153], v[72:73], a[176:179]// 00000000A324: D3E180B0 0EC29198
	ds_read_b128 v[48:51], v17 offset:17408                    // 00000000A32C: D9FE4400 30000011
	v_mfma_f32_16x16x16_bf16 a[180:183], a[154:155], v[72:73], a[180:183]// 00000000A334: D3E180B4 0ED2919A
	v_mfma_f32_16x16x16_bf16 a[184:187], a[156:157], v[72:73], a[184:187]// 00000000A33C: D3E180B8 0EE2919C
	ds_read_b128 v[52:55], v17 offset:18560                    // 00000000A344: D9FE4880 34000011
	v_mfma_f32_16x16x16_bf16 a[188:191], a[158:159], v[72:73], a[188:191]// 00000000A34C: D3E180BC 0EF2919E
	buffer_atomic_add_f32 v137, v8, s[32:35], 0 offen          // 00000000A354: E1341000 80088908
	v_mfma_f32_16x16x16_bf16 a[192:195], a[144:145], v[74:75], a[192:195]// 00000000A35C: D3E180C0 0F029590
	ds_read_b128 v[56:59], v17 offset:19712                    // 00000000A364: D9FE4D00 38000011
	v_mfma_f32_16x16x16_bf16 a[196:199], a[146:147], v[74:75], a[196:199]// 00000000A36C: D3E180C4 0F129592
	v_mfma_f32_16x16x16_bf16 a[200:203], a[148:149], v[74:75], a[200:203]// 00000000A374: D3E180C8 0F229594
	ds_read_b128 v[60:63], v17 offset:20864                    // 00000000A37C: D9FE5180 3C000011
	v_mfma_f32_16x16x16_bf16 a[204:207], a[150:151], v[74:75], a[204:207]// 00000000A384: D3E180CC 0F329596
	v_mfma_f32_16x16x16_bf16 a[208:211], a[152:153], v[74:75], a[208:211]// 00000000A38C: D3E180D0 0F429598
	ds_read_b128 v[64:67], v17 offset:22016                    // 00000000A394: D9FE5600 40000011
	v_mfma_f32_16x16x16_bf16 a[212:215], a[154:155], v[74:75], a[212:215]// 00000000A39C: D3E180D4 0F52959A
	buffer_atomic_add_f32 v138, v7, s[32:35], 0 offen offset:128// 00000000A3A4: E1341080 80088A07
	v_mfma_f32_16x16x16_bf16 a[216:219], a[156:157], v[74:75], a[216:219]// 00000000A3AC: D3E180D8 0F62959C
	ds_read_b128 v[68:71], v17 offset:23168                    // 00000000A3B4: D9FE5A80 44000011
	v_mfma_f32_16x16x16_bf16 a[220:223], a[158:159], v[74:75], a[220:223]// 00000000A3BC: D3E180DC 0F72959E
	v_mfma_f32_16x16x16_bf16 a[224:227], a[144:145], v[76:77], a[224:227]// 00000000A3C4: D3E180E0 0F829990
	ds_write_b32 v13, v88 offset:13056                         // 00000000A3CC: D81A3300 0000580D
	v_mfma_f32_16x16x16_bf16 a[228:231], a[146:147], v[76:77], a[228:231]// 00000000A3D4: D3E180E4 0F929992
	v_mfma_f32_16x16x16_bf16 a[232:235], a[148:149], v[76:77], a[232:235]// 00000000A3DC: D3E180E8 0FA29994
	ds_write_b32 v13, v89 offset:14112                         // 00000000A3E4: D81A3720 0000590D
	v_mfma_f32_16x16x16_bf16 a[236:239], a[150:151], v[76:77], a[236:239]// 00000000A3EC: D3E180EC 0FB29996
	buffer_atomic_add_f32 v139, v8, s[32:35], 0 offen offset:128// 00000000A3F4: E1341080 80088B08
	v_mfma_f32_16x16x16_bf16 a[240:243], a[152:153], v[76:77], a[240:243]// 00000000A3FC: D3E180F0 0FC29998
	ds_write_b32 v13, v90 offset:13184                         // 00000000A404: D81A3380 00005A0D
	v_mfma_f32_16x16x16_bf16 a[244:247], a[154:155], v[76:77], a[244:247]// 00000000A40C: D3E180F4 0FD2999A
	v_mfma_f32_16x16x16_bf16 a[248:251], a[156:157], v[76:77], a[248:251]// 00000000A414: D3E180F8 0FE2999C
	ds_write_b32 v13, v91 offset:14240                         // 00000000A41C: D81A37A0 00005B0D
	v_mfma_f32_16x16x16_bf16 a[252:255], a[158:159], v[76:77], a[252:255]// 00000000A424: D3E180FC 0FF2999E
	s_waitcnt vmcnt(8) lgkmcnt(4)                              // 00000000A42C: BF8C0478
	s_barrier                                                  // 00000000A430: BF8A0000
	v_mfma_f32_16x16x16_bf16 v[128:131], v[48:49], a[48:49], 0 // 00000000A434: D3E10080 12026130
	ds_read_b128 a[144:147], v10                               // 00000000A43C: DBFE0000 9000000A
	v_mov_b32_e32 v32, 0                                       // 00000000A444: 7E400280
	s_mov_b64 exec, s[90:91]                                   // 00000000A448: BEFE015A
	buffer_load_dword v32, v1, s[8:11], 0 idxen                // 00000000A44C: E0502000 80022001
	s_mov_b32 exec_lo, -1                                      // 00000000A454: BEFE00C1
	s_mov_b32 exec_hi, -1                                      // 00000000A458: BEFF00C1
	v_mfma_f32_16x16x16_bf16 v[128:131], v[50:51], a[52:53], v[128:131]// 00000000A45C: D3E10080 16026932
	v_mul_f32_e32 v124, s48, v124                              // 00000000A464: 0AF8F830
	s_nop 0                                                    // 00000000A468: BF800000
	v_mfma_f32_16x16x16_bf16 v[128:131], v[52:53], a[56:57], v[128:131]// 00000000A46C: D3E10080 16027134
	ds_read_b128 a[148:151], v10 offset:512                    // 00000000A474: DBFE0200 9400000A
	v_mov_b32_e32 v33, 0                                       // 00000000A47C: 7E420280
	s_mov_b64 exec, s[90:91]                                   // 00000000A480: BEFE015A
	buffer_load_dword v33, v2, s[8:11], 0 idxen                // 00000000A484: E0502000 80022102
	s_mov_b32 exec_lo, -1                                      // 00000000A48C: BEFE00C1
	s_mov_b32 exec_hi, -1                                      // 00000000A490: BEFF00C1
	v_mfma_f32_16x16x16_bf16 v[128:131], v[54:55], a[60:61], v[128:131]// 00000000A494: D3E10080 16027936
	v_mfma_f32_16x16x16_bf16 v[128:131], v[56:57], a[64:65], v[128:131]// 00000000A49C: D3E10080 16028138
	ds_read_b128 a[152:155], v10 offset:2176                   // 00000000A4A4: DBFE0880 9800000A
	v_mov_b32_e32 v34, 0                                       // 00000000A4AC: 7E440280
	s_mov_b64 exec, s[90:91]                                   // 00000000A4B0: BEFE015A
	buffer_load_dword v34, v3, s[8:11], 0 idxen                // 00000000A4B4: E0502000 80022203
	s_mov_b32 exec_lo, -1                                      // 00000000A4BC: BEFE00C1
	s_mov_b32 exec_hi, -1                                      // 00000000A4C0: BEFF00C1
	v_mfma_f32_16x16x16_bf16 v[128:131], v[58:59], a[68:69], v[128:131]// 00000000A4C4: D3E10080 1602893A
	v_perm_b32 v84, v37, v36, s63                              // 00000000A4CC: D1ED0054 00FE4925
	v_perm_b32 v85, v37, v36, s64                              // 00000000A4D4: D1ED0055 01024925
	v_mfma_f32_16x16x16_bf16 v[128:131], v[60:61], a[72:73], v[128:131]// 00000000A4DC: D3E10080 1602913C
	ds_read_b128 a[156:159], v10 offset:2688                   // 00000000A4E4: DBFE0A80 9C00000A
	v_mov_b32_e32 v35, 0                                       // 00000000A4EC: 7E460280
	s_mov_b64 exec, s[90:91]                                   // 00000000A4F0: BEFE015A
	buffer_load_dword v35, v4, s[8:11], 0 idxen                // 00000000A4F4: E0502000 80022304
	s_mov_b32 exec_lo, -1                                      // 00000000A4FC: BEFE00C1
	s_mov_b32 exec_hi, -1                                      // 00000000A500: BEFF00C1
	v_mfma_f32_16x16x16_bf16 v[128:131], v[62:63], a[76:77], v[128:131]// 00000000A504: D3E10080 1602993E
	v_perm_b32 v86, v39, v38, s63                              // 00000000A50C: D1ED0056 00FE4D27
	v_perm_b32 v87, v39, v38, s64                              // 00000000A514: D1ED0057 01024D27
	v_mfma_f32_16x16x16_bf16 v[128:131], v[64:65], a[80:81], v[128:131]// 00000000A51C: D3E10080 1602A140
	ds_read_b128 v[92:95], v10 offset:8704                     // 00000000A524: D9FE2200 5C00000A
	v_mov_b32_e32 v40, 0                                       // 00000000A52C: 7E500280
	s_mov_b64 exec, s[90:91]                                   // 00000000A530: BEFE015A
	buffer_load_dword v40, v252, s[20:23], 0 idxen             // 00000000A534: E0502000 800528FC
	s_mov_b32 exec_lo, -1                                      // 00000000A53C: BEFE00C1
	s_mov_b32 exec_hi, -1                                      // 00000000A540: BEFF00C1
	v_mfma_f32_16x16x16_bf16 v[128:131], v[66:67], a[84:85], v[128:131]// 00000000A544: D3E10080 1602A942
	v_perm_b32 v88, v45, v44, s63                              // 00000000A54C: D1ED0058 00FE592D
	v_perm_b32 v89, v45, v44, s64                              // 00000000A554: D1ED0059 0102592D
	v_mfma_f32_16x16x16_bf16 v[128:131], v[68:69], a[88:89], v[128:131]// 00000000A55C: D3E10080 1602B144
	ds_read_b128 v[96:99], v10 offset:9216                     // 00000000A564: D9FE2400 6000000A
	v_mov_b32_e32 v41, 0                                       // 00000000A56C: 7E520280
	s_mov_b64 exec, s[90:91]                                   // 00000000A570: BEFE015A
	buffer_load_dword v41, v253, s[20:23], 0 idxen             // 00000000A574: E0502000 800529FD
	s_mov_b32 exec_lo, -1                                      // 00000000A57C: BEFE00C1
	s_mov_b32 exec_hi, -1                                      // 00000000A580: BEFF00C1
	v_mfma_f32_16x16x16_bf16 v[128:131], v[70:71], a[92:93], v[128:131]// 00000000A584: D3E10080 1602B946
	v_perm_b32 v90, v47, v46, s63                              // 00000000A58C: D1ED005A 00FE5D2F
	v_perm_b32 v91, v47, v46, s64                              // 00000000A594: D1ED005B 01025D2F
	v_mfma_f32_16x16x16_bf16 v[132:135], v[48:49], a[50:51], 0 // 00000000A59C: D3E10084 12026530
	ds_read_b128 v[100:103], v10 offset:10880                  // 00000000A5A4: D9FE2A80 6400000A
	v_mov_b32_e32 v42, 0                                       // 00000000A5AC: 7E540280
	s_mov_b64 exec, s[90:91]                                   // 00000000A5B0: BEFE015A
	buffer_load_dword v42, v254, s[20:23], 0 idxen             // 00000000A5B4: E0502000 80052AFE
	s_mov_b32 exec_lo, -1                                      // 00000000A5BC: BEFE00C1
	s_mov_b32 exec_hi, -1                                      // 00000000A5C0: BEFF00C1
	v_mfma_f32_16x16x16_bf16 v[132:135], v[50:51], a[54:55], v[132:135]// 00000000A5C4: D3E10084 16126D32
	v_mov_b32_dpp v127, v124 quad_perm:[3,3,3,3] row_mask:0xf bank_mask:0xf// 00000000A5CC: 7EFE02FA FF00FF7C
	v_mov_b32_dpp v126, v124 quad_perm:[2,2,2,2] row_mask:0xf bank_mask:0xf// 00000000A5D4: 7EFC02FA FF00AA7C
	v_mfma_f32_16x16x16_bf16 v[132:135], v[52:53], a[58:59], v[132:135]// 00000000A5DC: D3E10084 16127534
	ds_read_b128 v[104:107], v10 offset:11392                  // 00000000A5E4: D9FE2C80 6800000A
	v_mov_b32_e32 v43, 0                                       // 00000000A5EC: 7E560280
	s_mov_b64 exec, s[90:91]                                   // 00000000A5F0: BEFE015A
	buffer_load_dword v43, v255, s[20:23], 0 idxen             // 00000000A5F4: E0502000 80052BFF
	s_mov_b32 exec_lo, -1                                      // 00000000A5FC: BEFE00C1
	s_mov_b32 exec_hi, -1                                      // 00000000A600: BEFF00C1
	v_mfma_f32_16x16x16_bf16 v[132:135], v[54:55], a[62:63], v[132:135]// 00000000A604: D3E10084 16127D36
	v_mov_b32_dpp v125, v124 quad_perm:[1,1,1,1] row_mask:0xf bank_mask:0xf// 00000000A60C: 7EFA02FA FF00557C
	v_mov_b32_dpp v124, v124 quad_perm:[0,0,0,0] row_mask:0xf bank_mask:0xf// 00000000A614: 7EF802FA FF00007C
	s_add_u32 s60, 64, s59                                     // 00000000A61C: 803C3BC0
	v_mfma_f32_16x16x16_bf16 v[132:135], v[56:57], a[66:67], v[132:135]// 00000000A620: D3E10084 16128538
	buffer_load_dword v9, s[24:27], 0 idxen lds                // 00000000A628: E0512000 80060009
	v_mfma_f32_16x16x16_bf16 v[132:135], v[58:59], a[70:71], v[132:135]// 00000000A630: D3E10084 16128D3A
	s_cmp_lt_u32 s60, s58                                      // 00000000A638: BF0A3A3C
	s_cselect_b32 s68, s68, 0                                  // 00000000A63C: 85448044
	s_cselect_b32 s99, s99, 0                                  // 00000000A640: 85638063
	s_cselect_b32 s69, s69, 0                                  // 00000000A644: 85458045
	v_mfma_f32_16x16x16_bf16 v[132:135], v[60:61], a[74:75], v[132:135]// 00000000A648: D3E10084 1612953C
	v_add_u32_e32 v1, s68, v1                                  // 00000000A650: 68020244
	v_add_u32_e32 v2, s68, v2                                  // 00000000A654: 68040444
	v_add_u32_e32 v3, s68, v3                                  // 00000000A658: 68060644
	v_add_u32_e32 v4, s68, v4                                  // 00000000A65C: 68080844
	v_mfma_f32_16x16x16_bf16 v[132:135], v[62:63], a[78:79], v[132:135]// 00000000A660: D3E10084 16129D3E
	v_add_u32_e32 v252, s99, v252                              // 00000000A668: 69F9F863
	v_add_u32_e32 v253, s99, v253                              // 00000000A66C: 69FBFA63
	v_add_u32_e32 v254, s99, v254                              // 00000000A670: 69FDFC63
	v_add_u32_e32 v255, s99, v255                              // 00000000A674: 69FFFE63
	v_mfma_f32_16x16x16_bf16 v[132:135], v[64:65], a[82:83], v[132:135]// 00000000A678: D3E10084 1612A540
	s_mov_b32 m0, s81                                          // 00000000A680: BEFC0051
	v_add_u32_e32 v9, s69, v9                                  // 00000000A684: 68121245
	v_mfma_f32_16x16x16_bf16 v[132:135], v[66:67], a[86:87], v[132:135]// 00000000A688: D3E10084 1612AD42
	s_cmp_ge_u32 s59, s73                                      // 00000000A690: BF09493B
	s_cselect_b32 s66, s67, s66                                // 00000000A694: 85424243
	v_mfma_f32_16x16x16_bf16 v[132:135], v[68:69], a[90:91], v[132:135]// 00000000A698: D3E10084 1612B544
	s_addk_i32 s59, 0x10                                       // 00000000A6A0: B73B0010
	s_nop 0                                                    // 00000000A6A4: BF800000
	s_cmp_lt_i32 s59, s58                                      // 00000000A6A8: BF043A3B
	v_mfma_f32_16x16x16_bf16 v[132:135], v[70:71], a[94:95], v[132:135]// 00000000A6AC: D3E10084 1612BD46
	s_cbranch_scc0 label_1253                                  // 00000000A6B4: BF84F81B
	s_branch label_1256                                        // 00000000A6B8: BF82F81D

000000000000a6bc <label_1A43>:
	buffer_atomic_add_f32 v140, v7, s[32:35], 0 offen offset:256// 00000000A6BC: E1341100 80088C07
	buffer_atomic_add_f32 v141, v8, s[32:35], 0 offen offset:256// 00000000A6C4: E1341100 80088D08
	buffer_atomic_add_f32 v142, v7, s[32:35], 0 offen offset:384// 00000000A6CC: E1341180 80088E07
	buffer_atomic_add_f32 v143, v8, s[32:35], 0 offen offset:384// 00000000A6D4: E1341180 80088F08
	v_add_u32_e32 v7, s66, v7                                  // 00000000A6DC: 680E0E42
	v_add_u32_e32 v8, s66, v8                                  // 00000000A6E0: 68101042
	v_lshrrev_b32_e32 v28, 5, v0                               // 00000000A6E4: 20380085
	v_mul_i32_i24_e32 v25, 0x42, v28                           // 00000000A6E8: 0C3238FF 00000042
	v_and_b32_e32 v28, 31, v0                                  // 00000000A6F0: 2638009F
	v_mul_i32_i24_e32 v29, 2, v28                              // 00000000A6F4: 0C3A3882
	v_add_u32_e32 v25, v29, v25                                // 00000000A6F8: 6832331D
	s_mul_i32 s60, s46, 0x420                                  // 00000000A6FC: 923CFF2E 00000420
	v_add_u32_e32 v25, s60, v25                                // 00000000A704: 6832323C
	v_lshlrev_b32_e32 v25, 2, v25                              // 00000000A708: 24323282
	v_mul_f32_e32 v128, s47, v128                              // 00000000A70C: 0B01002F
	v_mul_f32_e32 v129, s47, v129                              // 00000000A710: 0B03022F
	v_mul_f32_e32 v130, s47, v130                              // 00000000A714: 0B05042F
	v_mul_f32_e32 v131, s47, v131                              // 00000000A718: 0B07062F
	v_mul_f32_e32 v132, s47, v132                              // 00000000A71C: 0B09082F
	v_mul_f32_e32 v133, s47, v133                              // 00000000A720: 0B0B0A2F
	v_mul_f32_e32 v134, s47, v134                              // 00000000A724: 0B0D0C2F
	v_mul_f32_e32 v135, s47, v135                              // 00000000A728: 0B0F0E2F
	ds_write_b64 v20, v[128:129] offset:24320                  // 00000000A72C: D89A5F00 00008014
	ds_write_b64 v20, v[130:131] offset:24832                  // 00000000A734: D89A6100 00008214
	ds_write_b64 v20, v[132:133] offset:25344                  // 00000000A73C: D89A6300 00008414
	ds_write_b64 v20, v[134:135] offset:25856                  // 00000000A744: D89A6500 00008614
	s_waitcnt lgkmcnt(0)                                       // 00000000A74C: BF8CC07F
	s_barrier                                                  // 00000000A750: BF8A0000
	ds_read_b64 v[136:137], v19 offset:24320                   // 00000000A754: D8EC5F00 88000013
	ds_read_b64 v[138:139], v19 offset:26368                   // 00000000A75C: D8EC6700 8A000013
	ds_read_b64 v[140:141], v19 offset:28416                   // 00000000A764: D8EC6F00 8C000013
	ds_read_b64 v[142:143], v19 offset:30464                   // 00000000A76C: D8EC7700 8E000013
	s_waitcnt lgkmcnt(0)                                       // 00000000A774: BF8CC07F
	s_barrier                                                  // 00000000A778: BF8A0000
	buffer_atomic_add_f32 v136, v7, s[32:35], 0 offen          // 00000000A77C: E1341000 80088807
	buffer_atomic_add_f32 v137, v8, s[32:35], 0 offen          // 00000000A784: E1341000 80088908
	buffer_atomic_add_f32 v138, v7, s[32:35], 0 offen offset:128// 00000000A78C: E1341080 80088A07
	buffer_atomic_add_f32 v139, v8, s[32:35], 0 offen offset:128// 00000000A794: E1341080 80088B08
	buffer_atomic_add_f32 v140, v7, s[32:35], 0 offen offset:256// 00000000A79C: E1341100 80088C07
	buffer_atomic_add_f32 v141, v8, s[32:35], 0 offen offset:256// 00000000A7A4: E1341100 80088D08
	buffer_atomic_add_f32 v142, v7, s[32:35], 0 offen offset:384// 00000000A7AC: E1341180 80088E07
	buffer_atomic_add_f32 v143, v8, s[32:35], 0 offen offset:384// 00000000A7B4: E1341180 80088F08
	v_lshrrev_b32_e32 v28, 4, v0                               // 00000000A7BC: 20380084
	v_mul_i32_i24_e32 v24, 2, v28                              // 00000000A7C0: 0C303882
	v_and_b32_e32 v28, 15, v0                                  // 00000000A7C4: 2638008F
	v_mul_i32_i24_e32 v29, 0x42, v28                           // 00000000A7C8: 0C3A38FF 00000042
	v_add_u32_e32 v24, v29, v24                                // 00000000A7D0: 6830311D
	s_mul_i32 s60, s46, 0x420                                  // 00000000A7D4: 923CFF2E 00000420
	v_add_u32_e32 v24, s60, v24                                // 00000000A7DC: 6830303C
	v_lshlrev_b32_e32 v24, 2, v24                              // 00000000A7E0: 24303082
	v_and_b32_e32 v28, 15, v0                                  // 00000000A7E4: 2638008F
	v_mov_b32_e32 v29, s98                                     // 00000000A7E8: 7E3A0262
	v_lshrrev_b32_e32 v29, 3, v29                              // 00000000A7EC: 203A3A83
	v_cmp_lt_u32_e64 s[92:93], v28, v29                        // 00000000A7F0: D0C9005C 00023B1C
	v_accvgpr_read_b32 v30, a160                               // 00000000A7F8: D3D8401E 180001A0
	v_accvgpr_read_b32 v31, a161                               // 00000000A800: D3D8401F 180001A1
	v_mul_f32_e32 v30, s47, v30                                // 00000000A808: 0A3C3C2F
	v_mul_f32_e32 v31, s47, v31                                // 00000000A80C: 0A3E3E2F
	v_cmp_u_f32_e64 s[78:79], v30, v30                         // 00000000A810: D048004E 00023D1E
	v_bfe_u32 v248, v30, 16, 1                                 // 00000000A818: D1C800F8 0205211E
	v_add3_u32 v248, v30, v248, v251                           // 00000000A820: D1FF00F8 07EFF11E
	v_cndmask_b32_e64 v28, v248, v250, s[78:79]                // 00000000A828: D100001C 013BF5F8
	v_lshrrev_b32_e32 v28, 16, v28                             // 00000000A830: 20383890
	v_cmp_u_f32_e64 s[78:79], v31, v31                         // 00000000A834: D048004E 00023F1F
	v_bfe_u32 v248, v31, 16, 1                                 // 00000000A83C: D1C800F8 0205211F
	v_add3_u32 v248, v31, v248, v251                           // 00000000A844: D1FF00F8 07EFF11F
	v_cndmask_b32_e64 v29, v248, v250, s[78:79]                // 00000000A84C: D100001D 013BF5F8
	v_and_or_b32 v48, v29, v249, v28                           // 00000000A854: D2010030 0473F31D
	v_accvgpr_read_b32 v30, a162                               // 00000000A85C: D3D8401E 180001A2
	v_accvgpr_read_b32 v31, a163                               // 00000000A864: D3D8401F 180001A3
	v_mul_f32_e32 v30, s47, v30                                // 00000000A86C: 0A3C3C2F
	v_mul_f32_e32 v31, s47, v31                                // 00000000A870: 0A3E3E2F
	v_cmp_u_f32_e64 s[78:79], v30, v30                         // 00000000A874: D048004E 00023D1E
	v_bfe_u32 v248, v30, 16, 1                                 // 00000000A87C: D1C800F8 0205211E
	v_add3_u32 v248, v30, v248, v251                           // 00000000A884: D1FF00F8 07EFF11E
	v_cndmask_b32_e64 v28, v248, v250, s[78:79]                // 00000000A88C: D100001C 013BF5F8
	v_lshrrev_b32_e32 v28, 16, v28                             // 00000000A894: 20383890
	v_cmp_u_f32_e64 s[78:79], v31, v31                         // 00000000A898: D048004E 00023F1F
	v_bfe_u32 v248, v31, 16, 1                                 // 00000000A8A0: D1C800F8 0205211F
	v_add3_u32 v248, v31, v248, v251                           // 00000000A8A8: D1FF00F8 07EFF11F
	v_cndmask_b32_e64 v29, v248, v250, s[78:79]                // 00000000A8B0: D100001D 013BF5F8
	v_and_or_b32 v49, v29, v249, v28                           // 00000000A8B8: D2010031 0473F31D
	v_accvgpr_read_b32 v30, a164                               // 00000000A8C0: D3D8401E 180001A4
	v_accvgpr_read_b32 v31, a165                               // 00000000A8C8: D3D8401F 180001A5
	v_mul_f32_e32 v30, s47, v30                                // 00000000A8D0: 0A3C3C2F
	v_mul_f32_e32 v31, s47, v31                                // 00000000A8D4: 0A3E3E2F
	v_cmp_u_f32_e64 s[78:79], v30, v30                         // 00000000A8D8: D048004E 00023D1E
	v_bfe_u32 v248, v30, 16, 1                                 // 00000000A8E0: D1C800F8 0205211E
	v_add3_u32 v248, v30, v248, v251                           // 00000000A8E8: D1FF00F8 07EFF11E
	v_cndmask_b32_e64 v28, v248, v250, s[78:79]                // 00000000A8F0: D100001C 013BF5F8
	v_lshrrev_b32_e32 v28, 16, v28                             // 00000000A8F8: 20383890
	v_cmp_u_f32_e64 s[78:79], v31, v31                         // 00000000A8FC: D048004E 00023F1F
	v_bfe_u32 v248, v31, 16, 1                                 // 00000000A904: D1C800F8 0205211F
	v_add3_u32 v248, v31, v248, v251                           // 00000000A90C: D1FF00F8 07EFF11F
	v_cndmask_b32_e64 v29, v248, v250, s[78:79]                // 00000000A914: D100001D 013BF5F8
	v_and_or_b32 v50, v29, v249, v28                           // 00000000A91C: D2010032 0473F31D
	v_accvgpr_read_b32 v30, a166                               // 00000000A924: D3D8401E 180001A6
	v_accvgpr_read_b32 v31, a167                               // 00000000A92C: D3D8401F 180001A7
	v_mul_f32_e32 v30, s47, v30                                // 00000000A934: 0A3C3C2F
	v_mul_f32_e32 v31, s47, v31                                // 00000000A938: 0A3E3E2F
	v_cmp_u_f32_e64 s[78:79], v30, v30                         // 00000000A93C: D048004E 00023D1E
	v_bfe_u32 v248, v30, 16, 1                                 // 00000000A944: D1C800F8 0205211E
	v_add3_u32 v248, v30, v248, v251                           // 00000000A94C: D1FF00F8 07EFF11E
	v_cndmask_b32_e64 v28, v248, v250, s[78:79]                // 00000000A954: D100001C 013BF5F8
	v_lshrrev_b32_e32 v28, 16, v28                             // 00000000A95C: 20383890
	v_cmp_u_f32_e64 s[78:79], v31, v31                         // 00000000A960: D048004E 00023F1F
	v_bfe_u32 v248, v31, 16, 1                                 // 00000000A968: D1C800F8 0205211F
	v_add3_u32 v248, v31, v248, v251                           // 00000000A970: D1FF00F8 07EFF11F
	v_cndmask_b32_e64 v29, v248, v250, s[78:79]                // 00000000A978: D100001D 013BF5F8
	v_and_or_b32 v51, v29, v249, v28                           // 00000000A980: D2010033 0473F31D
	v_accvgpr_read_b32 v30, a168                               // 00000000A988: D3D8401E 180001A8
	v_accvgpr_read_b32 v31, a169                               // 00000000A990: D3D8401F 180001A9
	v_mul_f32_e32 v30, s47, v30                                // 00000000A998: 0A3C3C2F
	v_mul_f32_e32 v31, s47, v31                                // 00000000A99C: 0A3E3E2F
	v_cmp_u_f32_e64 s[78:79], v30, v30                         // 00000000A9A0: D048004E 00023D1E
	v_bfe_u32 v248, v30, 16, 1                                 // 00000000A9A8: D1C800F8 0205211E
	v_add3_u32 v248, v30, v248, v251                           // 00000000A9B0: D1FF00F8 07EFF11E
	v_cndmask_b32_e64 v28, v248, v250, s[78:79]                // 00000000A9B8: D100001C 013BF5F8
	v_lshrrev_b32_e32 v28, 16, v28                             // 00000000A9C0: 20383890
	v_cmp_u_f32_e64 s[78:79], v31, v31                         // 00000000A9C4: D048004E 00023F1F
	v_bfe_u32 v248, v31, 16, 1                                 // 00000000A9CC: D1C800F8 0205211F
	v_add3_u32 v248, v31, v248, v251                           // 00000000A9D4: D1FF00F8 07EFF11F
	v_cndmask_b32_e64 v29, v248, v250, s[78:79]                // 00000000A9DC: D100001D 013BF5F8
	v_and_or_b32 v52, v29, v249, v28                           // 00000000A9E4: D2010034 0473F31D
	v_accvgpr_read_b32 v30, a170                               // 00000000A9EC: D3D8401E 180001AA
	v_accvgpr_read_b32 v31, a171                               // 00000000A9F4: D3D8401F 180001AB
	v_mul_f32_e32 v30, s47, v30                                // 00000000A9FC: 0A3C3C2F
	v_mul_f32_e32 v31, s47, v31                                // 00000000AA00: 0A3E3E2F
	v_cmp_u_f32_e64 s[78:79], v30, v30                         // 00000000AA04: D048004E 00023D1E
	v_bfe_u32 v248, v30, 16, 1                                 // 00000000AA0C: D1C800F8 0205211E
	v_add3_u32 v248, v30, v248, v251                           // 00000000AA14: D1FF00F8 07EFF11E
	v_cndmask_b32_e64 v28, v248, v250, s[78:79]                // 00000000AA1C: D100001C 013BF5F8
	v_lshrrev_b32_e32 v28, 16, v28                             // 00000000AA24: 20383890
	v_cmp_u_f32_e64 s[78:79], v31, v31                         // 00000000AA28: D048004E 00023F1F
	v_bfe_u32 v248, v31, 16, 1                                 // 00000000AA30: D1C800F8 0205211F
	v_add3_u32 v248, v31, v248, v251                           // 00000000AA38: D1FF00F8 07EFF11F
	v_cndmask_b32_e64 v29, v248, v250, s[78:79]                // 00000000AA40: D100001D 013BF5F8
	v_and_or_b32 v53, v29, v249, v28                           // 00000000AA48: D2010035 0473F31D
	v_accvgpr_read_b32 v30, a172                               // 00000000AA50: D3D8401E 180001AC
	v_accvgpr_read_b32 v31, a173                               // 00000000AA58: D3D8401F 180001AD
	v_mul_f32_e32 v30, s47, v30                                // 00000000AA60: 0A3C3C2F
	v_mul_f32_e32 v31, s47, v31                                // 00000000AA64: 0A3E3E2F
	v_cmp_u_f32_e64 s[78:79], v30, v30                         // 00000000AA68: D048004E 00023D1E
	v_bfe_u32 v248, v30, 16, 1                                 // 00000000AA70: D1C800F8 0205211E
	v_add3_u32 v248, v30, v248, v251                           // 00000000AA78: D1FF00F8 07EFF11E
	v_cndmask_b32_e64 v28, v248, v250, s[78:79]                // 00000000AA80: D100001C 013BF5F8
	v_lshrrev_b32_e32 v28, 16, v28                             // 00000000AA88: 20383890
	v_cmp_u_f32_e64 s[78:79], v31, v31                         // 00000000AA8C: D048004E 00023F1F
	v_bfe_u32 v248, v31, 16, 1                                 // 00000000AA94: D1C800F8 0205211F
	v_add3_u32 v248, v31, v248, v251                           // 00000000AA9C: D1FF00F8 07EFF11F
	v_cndmask_b32_e64 v29, v248, v250, s[78:79]                // 00000000AAA4: D100001D 013BF5F8
	v_and_or_b32 v54, v29, v249, v28                           // 00000000AAAC: D2010036 0473F31D
	v_accvgpr_read_b32 v30, a174                               // 00000000AAB4: D3D8401E 180001AE
	v_accvgpr_read_b32 v31, a175                               // 00000000AABC: D3D8401F 180001AF
	v_mul_f32_e32 v30, s47, v30                                // 00000000AAC4: 0A3C3C2F
	v_mul_f32_e32 v31, s47, v31                                // 00000000AAC8: 0A3E3E2F
	v_cmp_u_f32_e64 s[78:79], v30, v30                         // 00000000AACC: D048004E 00023D1E
	v_bfe_u32 v248, v30, 16, 1                                 // 00000000AAD4: D1C800F8 0205211E
	v_add3_u32 v248, v30, v248, v251                           // 00000000AADC: D1FF00F8 07EFF11E
	v_cndmask_b32_e64 v28, v248, v250, s[78:79]                // 00000000AAE4: D100001C 013BF5F8
	v_lshrrev_b32_e32 v28, 16, v28                             // 00000000AAEC: 20383890
	v_cmp_u_f32_e64 s[78:79], v31, v31                         // 00000000AAF0: D048004E 00023F1F
	v_bfe_u32 v248, v31, 16, 1                                 // 00000000AAF8: D1C800F8 0205211F
	v_add3_u32 v248, v31, v248, v251                           // 00000000AB00: D1FF00F8 07EFF11F
	v_cndmask_b32_e64 v29, v248, v250, s[78:79]                // 00000000AB08: D100001D 013BF5F8
	v_and_or_b32 v55, v29, v249, v28                           // 00000000AB10: D2010037 0473F31D
	v_accvgpr_read_b32 v30, a176                               // 00000000AB18: D3D8401E 180001B0
	v_accvgpr_read_b32 v31, a177                               // 00000000AB20: D3D8401F 180001B1
	v_mul_f32_e32 v30, s47, v30                                // 00000000AB28: 0A3C3C2F
	v_mul_f32_e32 v31, s47, v31                                // 00000000AB2C: 0A3E3E2F
	v_cmp_u_f32_e64 s[78:79], v30, v30                         // 00000000AB30: D048004E 00023D1E
	v_bfe_u32 v248, v30, 16, 1                                 // 00000000AB38: D1C800F8 0205211E
	v_add3_u32 v248, v30, v248, v251                           // 00000000AB40: D1FF00F8 07EFF11E
	v_cndmask_b32_e64 v28, v248, v250, s[78:79]                // 00000000AB48: D100001C 013BF5F8
	v_lshrrev_b32_e32 v28, 16, v28                             // 00000000AB50: 20383890
	v_cmp_u_f32_e64 s[78:79], v31, v31                         // 00000000AB54: D048004E 00023F1F
	v_bfe_u32 v248, v31, 16, 1                                 // 00000000AB5C: D1C800F8 0205211F
	v_add3_u32 v248, v31, v248, v251                           // 00000000AB64: D1FF00F8 07EFF11F
	v_cndmask_b32_e64 v29, v248, v250, s[78:79]                // 00000000AB6C: D100001D 013BF5F8
	v_and_or_b32 v56, v29, v249, v28                           // 00000000AB74: D2010038 0473F31D
	v_accvgpr_read_b32 v30, a178                               // 00000000AB7C: D3D8401E 180001B2
	v_accvgpr_read_b32 v31, a179                               // 00000000AB84: D3D8401F 180001B3
	v_mul_f32_e32 v30, s47, v30                                // 00000000AB8C: 0A3C3C2F
	v_mul_f32_e32 v31, s47, v31                                // 00000000AB90: 0A3E3E2F
	v_cmp_u_f32_e64 s[78:79], v30, v30                         // 00000000AB94: D048004E 00023D1E
	v_bfe_u32 v248, v30, 16, 1                                 // 00000000AB9C: D1C800F8 0205211E
	v_add3_u32 v248, v30, v248, v251                           // 00000000ABA4: D1FF00F8 07EFF11E
	v_cndmask_b32_e64 v28, v248, v250, s[78:79]                // 00000000ABAC: D100001C 013BF5F8
	v_lshrrev_b32_e32 v28, 16, v28                             // 00000000ABB4: 20383890
	v_cmp_u_f32_e64 s[78:79], v31, v31                         // 00000000ABB8: D048004E 00023F1F
	v_bfe_u32 v248, v31, 16, 1                                 // 00000000ABC0: D1C800F8 0205211F
	v_add3_u32 v248, v31, v248, v251                           // 00000000ABC8: D1FF00F8 07EFF11F
	v_cndmask_b32_e64 v29, v248, v250, s[78:79]                // 00000000ABD0: D100001D 013BF5F8
	v_and_or_b32 v57, v29, v249, v28                           // 00000000ABD8: D2010039 0473F31D
	v_accvgpr_read_b32 v30, a180                               // 00000000ABE0: D3D8401E 180001B4
	v_accvgpr_read_b32 v31, a181                               // 00000000ABE8: D3D8401F 180001B5
	v_mul_f32_e32 v30, s47, v30                                // 00000000ABF0: 0A3C3C2F
	v_mul_f32_e32 v31, s47, v31                                // 00000000ABF4: 0A3E3E2F
	v_cmp_u_f32_e64 s[78:79], v30, v30                         // 00000000ABF8: D048004E 00023D1E
	v_bfe_u32 v248, v30, 16, 1                                 // 00000000AC00: D1C800F8 0205211E
	v_add3_u32 v248, v30, v248, v251                           // 00000000AC08: D1FF00F8 07EFF11E
	v_cndmask_b32_e64 v28, v248, v250, s[78:79]                // 00000000AC10: D100001C 013BF5F8
	v_lshrrev_b32_e32 v28, 16, v28                             // 00000000AC18: 20383890
	v_cmp_u_f32_e64 s[78:79], v31, v31                         // 00000000AC1C: D048004E 00023F1F
	v_bfe_u32 v248, v31, 16, 1                                 // 00000000AC24: D1C800F8 0205211F
	v_add3_u32 v248, v31, v248, v251                           // 00000000AC2C: D1FF00F8 07EFF11F
	v_cndmask_b32_e64 v29, v248, v250, s[78:79]                // 00000000AC34: D100001D 013BF5F8
	v_and_or_b32 v58, v29, v249, v28                           // 00000000AC3C: D201003A 0473F31D
	v_accvgpr_read_b32 v30, a182                               // 00000000AC44: D3D8401E 180001B6
	v_accvgpr_read_b32 v31, a183                               // 00000000AC4C: D3D8401F 180001B7
	v_mul_f32_e32 v30, s47, v30                                // 00000000AC54: 0A3C3C2F
	v_mul_f32_e32 v31, s47, v31                                // 00000000AC58: 0A3E3E2F
	v_cmp_u_f32_e64 s[78:79], v30, v30                         // 00000000AC5C: D048004E 00023D1E
	v_bfe_u32 v248, v30, 16, 1                                 // 00000000AC64: D1C800F8 0205211E
	v_add3_u32 v248, v30, v248, v251                           // 00000000AC6C: D1FF00F8 07EFF11E
	v_cndmask_b32_e64 v28, v248, v250, s[78:79]                // 00000000AC74: D100001C 013BF5F8
	v_lshrrev_b32_e32 v28, 16, v28                             // 00000000AC7C: 20383890
	v_cmp_u_f32_e64 s[78:79], v31, v31                         // 00000000AC80: D048004E 00023F1F
	v_bfe_u32 v248, v31, 16, 1                                 // 00000000AC88: D1C800F8 0205211F
	v_add3_u32 v248, v31, v248, v251                           // 00000000AC90: D1FF00F8 07EFF11F
	v_cndmask_b32_e64 v29, v248, v250, s[78:79]                // 00000000AC98: D100001D 013BF5F8
	v_and_or_b32 v59, v29, v249, v28                           // 00000000ACA0: D201003B 0473F31D
	v_accvgpr_read_b32 v30, a184                               // 00000000ACA8: D3D8401E 180001B8
	v_accvgpr_read_b32 v31, a185                               // 00000000ACB0: D3D8401F 180001B9
	v_mul_f32_e32 v30, s47, v30                                // 00000000ACB8: 0A3C3C2F
	v_mul_f32_e32 v31, s47, v31                                // 00000000ACBC: 0A3E3E2F
	v_cmp_u_f32_e64 s[78:79], v30, v30                         // 00000000ACC0: D048004E 00023D1E
	v_bfe_u32 v248, v30, 16, 1                                 // 00000000ACC8: D1C800F8 0205211E
	v_add3_u32 v248, v30, v248, v251                           // 00000000ACD0: D1FF00F8 07EFF11E
	v_cndmask_b32_e64 v28, v248, v250, s[78:79]                // 00000000ACD8: D100001C 013BF5F8
	v_lshrrev_b32_e32 v28, 16, v28                             // 00000000ACE0: 20383890
	v_cmp_u_f32_e64 s[78:79], v31, v31                         // 00000000ACE4: D048004E 00023F1F
	v_bfe_u32 v248, v31, 16, 1                                 // 00000000ACEC: D1C800F8 0205211F
	v_add3_u32 v248, v31, v248, v251                           // 00000000ACF4: D1FF00F8 07EFF11F
	v_cndmask_b32_e64 v29, v248, v250, s[78:79]                // 00000000ACFC: D100001D 013BF5F8
	v_and_or_b32 v60, v29, v249, v28                           // 00000000AD04: D201003C 0473F31D
	v_accvgpr_read_b32 v30, a186                               // 00000000AD0C: D3D8401E 180001BA
	v_accvgpr_read_b32 v31, a187                               // 00000000AD14: D3D8401F 180001BB
	v_mul_f32_e32 v30, s47, v30                                // 00000000AD1C: 0A3C3C2F
	v_mul_f32_e32 v31, s47, v31                                // 00000000AD20: 0A3E3E2F
	v_cmp_u_f32_e64 s[78:79], v30, v30                         // 00000000AD24: D048004E 00023D1E
	v_bfe_u32 v248, v30, 16, 1                                 // 00000000AD2C: D1C800F8 0205211E
	v_add3_u32 v248, v30, v248, v251                           // 00000000AD34: D1FF00F8 07EFF11E
	v_cndmask_b32_e64 v28, v248, v250, s[78:79]                // 00000000AD3C: D100001C 013BF5F8
	v_lshrrev_b32_e32 v28, 16, v28                             // 00000000AD44: 20383890
	v_cmp_u_f32_e64 s[78:79], v31, v31                         // 00000000AD48: D048004E 00023F1F
	v_bfe_u32 v248, v31, 16, 1                                 // 00000000AD50: D1C800F8 0205211F
	v_add3_u32 v248, v31, v248, v251                           // 00000000AD58: D1FF00F8 07EFF11F
	v_cndmask_b32_e64 v29, v248, v250, s[78:79]                // 00000000AD60: D100001D 013BF5F8
	v_and_or_b32 v61, v29, v249, v28                           // 00000000AD68: D201003D 0473F31D
	v_accvgpr_read_b32 v30, a188                               // 00000000AD70: D3D8401E 180001BC
	v_accvgpr_read_b32 v31, a189                               // 00000000AD78: D3D8401F 180001BD
	v_mul_f32_e32 v30, s47, v30                                // 00000000AD80: 0A3C3C2F
	v_mul_f32_e32 v31, s47, v31                                // 00000000AD84: 0A3E3E2F
	v_cmp_u_f32_e64 s[78:79], v30, v30                         // 00000000AD88: D048004E 00023D1E
	v_bfe_u32 v248, v30, 16, 1                                 // 00000000AD90: D1C800F8 0205211E
	v_add3_u32 v248, v30, v248, v251                           // 00000000AD98: D1FF00F8 07EFF11E
	v_cndmask_b32_e64 v28, v248, v250, s[78:79]                // 00000000ADA0: D100001C 013BF5F8
	v_lshrrev_b32_e32 v28, 16, v28                             // 00000000ADA8: 20383890
	v_cmp_u_f32_e64 s[78:79], v31, v31                         // 00000000ADAC: D048004E 00023F1F
	v_bfe_u32 v248, v31, 16, 1                                 // 00000000ADB4: D1C800F8 0205211F
	v_add3_u32 v248, v31, v248, v251                           // 00000000ADBC: D1FF00F8 07EFF11F
	v_cndmask_b32_e64 v29, v248, v250, s[78:79]                // 00000000ADC4: D100001D 013BF5F8
	v_and_or_b32 v62, v29, v249, v28                           // 00000000ADCC: D201003E 0473F31D
	v_accvgpr_read_b32 v30, a190                               // 00000000ADD4: D3D8401E 180001BE
	v_accvgpr_read_b32 v31, a191                               // 00000000ADDC: D3D8401F 180001BF
	v_mul_f32_e32 v30, s47, v30                                // 00000000ADE4: 0A3C3C2F
	v_mul_f32_e32 v31, s47, v31                                // 00000000ADE8: 0A3E3E2F
	v_cmp_u_f32_e64 s[78:79], v30, v30                         // 00000000ADEC: D048004E 00023D1E
	v_bfe_u32 v248, v30, 16, 1                                 // 00000000ADF4: D1C800F8 0205211E
	v_add3_u32 v248, v30, v248, v251                           // 00000000ADFC: D1FF00F8 07EFF11E
	v_cndmask_b32_e64 v28, v248, v250, s[78:79]                // 00000000AE04: D100001C 013BF5F8
	v_lshrrev_b32_e32 v28, 16, v28                             // 00000000AE0C: 20383890
	v_cmp_u_f32_e64 s[78:79], v31, v31                         // 00000000AE10: D048004E 00023F1F
	v_bfe_u32 v248, v31, 16, 1                                 // 00000000AE18: D1C800F8 0205211F
	v_add3_u32 v248, v31, v248, v251                           // 00000000AE20: D1FF00F8 07EFF11F
	v_cndmask_b32_e64 v29, v248, v250, s[78:79]                // 00000000AE28: D100001D 013BF5F8
	v_and_or_b32 v63, v29, v249, v28                           // 00000000AE30: D201003F 0473F31D
	ds_write_b64 v25, v[48:49]                                 // 00000000AE38: D89A0000 00003019
	ds_write_b64 v25, v[50:51] offset:528                      // 00000000AE40: D89A0210 00003219
	ds_write_b64 v25, v[52:53] offset:1056                     // 00000000AE48: D89A0420 00003419
	ds_write_b64 v25, v[54:55] offset:1584                     // 00000000AE50: D89A0630 00003619
	ds_write_b64 v25, v[56:57] offset:2112                     // 00000000AE58: D89A0840 00003819
	ds_write_b64 v25, v[58:59] offset:2640                     // 00000000AE60: D89A0A50 00003A19
	ds_write_b64 v25, v[60:61] offset:3168                     // 00000000AE68: D89A0C60 00003C19
	ds_write_b64 v25, v[62:63] offset:3696                     // 00000000AE70: D89A0E70 00003E19
	s_waitcnt lgkmcnt(0)                                       // 00000000AE78: BF8CC07F
	s_barrier                                                  // 00000000AE7C: BF8A0000
	ds_read_b64 v[48:49], v24                                  // 00000000AE80: D8EC0000 30000018
	ds_read_b64 v[50:51], v24 offset:128                       // 00000000AE88: D8EC0080 32000018
	ds_read_b64 v[52:53], v24 offset:32                        // 00000000AE90: D8EC0020 34000018
	ds_read_b64 v[54:55], v24 offset:160                       // 00000000AE98: D8EC00A0 36000018
	ds_read_b64 v[56:57], v24 offset:64                        // 00000000AEA0: D8EC0040 38000018
	ds_read_b64 v[58:59], v24 offset:192                       // 00000000AEA8: D8EC00C0 3A000018
	ds_read_b64 v[60:61], v24 offset:96                        // 00000000AEB0: D8EC0060 3C000018
	ds_read_b64 v[62:63], v24 offset:224                       // 00000000AEB8: D8EC00E0 3E000018
	s_waitcnt lgkmcnt(0)                                       // 00000000AEC0: BF8CC07F
	s_mov_b32 s70, s52                                         // 00000000AEC4: BEC60034
	s_mov_b64 exec, s[92:93]                                   // 00000000AEC8: BEFE015C
	buffer_store_dwordx4 v[48:51], v5, s[36:39], 0 idxen       // 00000000AECC: E07C2000 80093005
	s_mov_b32 exec_lo, -1                                      // 00000000AED4: BEFE00C1
	s_mov_b32 exec_hi, -1                                      // 00000000AED8: BEFF00C1
	v_add_u32_e32 v5, s70, v5                                  // 00000000AEDC: 680A0A46
	s_mov_b64 exec, s[92:93]                                   // 00000000AEE0: BEFE015C
	buffer_store_dwordx4 v[52:55], v5, s[36:39], 0 idxen       // 00000000AEE4: E07C2000 80093405
	s_mov_b32 exec_lo, -1                                      // 00000000AEEC: BEFE00C1
	s_mov_b32 exec_hi, -1                                      // 00000000AEF0: BEFF00C1
	v_add_u32_e32 v5, s70, v5                                  // 00000000AEF4: 680A0A46
	s_mov_b64 exec, s[92:93]                                   // 00000000AEF8: BEFE015C
	buffer_store_dwordx4 v[56:59], v5, s[36:39], 0 idxen       // 00000000AEFC: E07C2000 80093805
	s_mov_b32 exec_lo, -1                                      // 00000000AF04: BEFE00C1
	s_mov_b32 exec_hi, -1                                      // 00000000AF08: BEFF00C1
	v_add_u32_e32 v5, s70, v5                                  // 00000000AF0C: 680A0A46
	s_mov_b64 exec, s[92:93]                                   // 00000000AF10: BEFE015C
	buffer_store_dwordx4 v[60:63], v5, s[36:39], 0 idxen       // 00000000AF14: E07C2000 80093C05
	s_mov_b32 exec_lo, -1                                      // 00000000AF1C: BEFE00C1
	s_mov_b32 exec_hi, -1                                      // 00000000AF20: BEFF00C1
	v_add_u32_e32 v5, s70, v5                                  // 00000000AF24: 680A0A46
	s_mul_i32 s60, 12, s70                                     // 00000000AF28: 923C468C
	v_add_u32_e32 v5, s60, v5                                  // 00000000AF2C: 680A0A3C
	s_barrier                                                  // 00000000AF30: BF8A0000
	s_cmp_ge_i32 1, s72                                        // 00000000AF34: BF034881
	s_cbranch_scc1 label_2005                                  // 00000000AF38: BF8503A2
	v_accvgpr_read_b32 v30, a192                               // 00000000AF3C: D3D8401E 180001C0
	v_accvgpr_read_b32 v31, a193                               // 00000000AF44: D3D8401F 180001C1
	v_mul_f32_e32 v30, s47, v30                                // 00000000AF4C: 0A3C3C2F
	v_mul_f32_e32 v31, s47, v31                                // 00000000AF50: 0A3E3E2F
	v_cmp_u_f32_e64 s[78:79], v30, v30                         // 00000000AF54: D048004E 00023D1E
	v_bfe_u32 v248, v30, 16, 1                                 // 00000000AF5C: D1C800F8 0205211E
	v_add3_u32 v248, v30, v248, v251                           // 00000000AF64: D1FF00F8 07EFF11E
	v_cndmask_b32_e64 v28, v248, v250, s[78:79]                // 00000000AF6C: D100001C 013BF5F8
	v_lshrrev_b32_e32 v28, 16, v28                             // 00000000AF74: 20383890
	v_cmp_u_f32_e64 s[78:79], v31, v31                         // 00000000AF78: D048004E 00023F1F
	v_bfe_u32 v248, v31, 16, 1                                 // 00000000AF80: D1C800F8 0205211F
	v_add3_u32 v248, v31, v248, v251                           // 00000000AF88: D1FF00F8 07EFF11F
	v_cndmask_b32_e64 v29, v248, v250, s[78:79]                // 00000000AF90: D100001D 013BF5F8
	v_and_or_b32 v64, v29, v249, v28                           // 00000000AF98: D2010040 0473F31D
	v_accvgpr_read_b32 v30, a194                               // 00000000AFA0: D3D8401E 180001C2
	v_accvgpr_read_b32 v31, a195                               // 00000000AFA8: D3D8401F 180001C3
	v_mul_f32_e32 v30, s47, v30                                // 00000000AFB0: 0A3C3C2F
	v_mul_f32_e32 v31, s47, v31                                // 00000000AFB4: 0A3E3E2F
	v_cmp_u_f32_e64 s[78:79], v30, v30                         // 00000000AFB8: D048004E 00023D1E
	v_bfe_u32 v248, v30, 16, 1                                 // 00000000AFC0: D1C800F8 0205211E
	v_add3_u32 v248, v30, v248, v251                           // 00000000AFC8: D1FF00F8 07EFF11E
	v_cndmask_b32_e64 v28, v248, v250, s[78:79]                // 00000000AFD0: D100001C 013BF5F8
	v_lshrrev_b32_e32 v28, 16, v28                             // 00000000AFD8: 20383890
	v_cmp_u_f32_e64 s[78:79], v31, v31                         // 00000000AFDC: D048004E 00023F1F
	v_bfe_u32 v248, v31, 16, 1                                 // 00000000AFE4: D1C800F8 0205211F
	v_add3_u32 v248, v31, v248, v251                           // 00000000AFEC: D1FF00F8 07EFF11F
	v_cndmask_b32_e64 v29, v248, v250, s[78:79]                // 00000000AFF4: D100001D 013BF5F8
	v_and_or_b32 v65, v29, v249, v28                           // 00000000AFFC: D2010041 0473F31D
	v_accvgpr_read_b32 v30, a196                               // 00000000B004: D3D8401E 180001C4
	v_accvgpr_read_b32 v31, a197                               // 00000000B00C: D3D8401F 180001C5
	v_mul_f32_e32 v30, s47, v30                                // 00000000B014: 0A3C3C2F
	v_mul_f32_e32 v31, s47, v31                                // 00000000B018: 0A3E3E2F
	v_cmp_u_f32_e64 s[78:79], v30, v30                         // 00000000B01C: D048004E 00023D1E
	v_bfe_u32 v248, v30, 16, 1                                 // 00000000B024: D1C800F8 0205211E
	v_add3_u32 v248, v30, v248, v251                           // 00000000B02C: D1FF00F8 07EFF11E
	v_cndmask_b32_e64 v28, v248, v250, s[78:79]                // 00000000B034: D100001C 013BF5F8
	v_lshrrev_b32_e32 v28, 16, v28                             // 00000000B03C: 20383890
	v_cmp_u_f32_e64 s[78:79], v31, v31                         // 00000000B040: D048004E 00023F1F
	v_bfe_u32 v248, v31, 16, 1                                 // 00000000B048: D1C800F8 0205211F
	v_add3_u32 v248, v31, v248, v251                           // 00000000B050: D1FF00F8 07EFF11F
	v_cndmask_b32_e64 v29, v248, v250, s[78:79]                // 00000000B058: D100001D 013BF5F8
	v_and_or_b32 v66, v29, v249, v28                           // 00000000B060: D2010042 0473F31D
	v_accvgpr_read_b32 v30, a198                               // 00000000B068: D3D8401E 180001C6
	v_accvgpr_read_b32 v31, a199                               // 00000000B070: D3D8401F 180001C7
	v_mul_f32_e32 v30, s47, v30                                // 00000000B078: 0A3C3C2F
	v_mul_f32_e32 v31, s47, v31                                // 00000000B07C: 0A3E3E2F
	v_cmp_u_f32_e64 s[78:79], v30, v30                         // 00000000B080: D048004E 00023D1E
	v_bfe_u32 v248, v30, 16, 1                                 // 00000000B088: D1C800F8 0205211E
	v_add3_u32 v248, v30, v248, v251                           // 00000000B090: D1FF00F8 07EFF11E
	v_cndmask_b32_e64 v28, v248, v250, s[78:79]                // 00000000B098: D100001C 013BF5F8
	v_lshrrev_b32_e32 v28, 16, v28                             // 00000000B0A0: 20383890
	v_cmp_u_f32_e64 s[78:79], v31, v31                         // 00000000B0A4: D048004E 00023F1F
	v_bfe_u32 v248, v31, 16, 1                                 // 00000000B0AC: D1C800F8 0205211F
	v_add3_u32 v248, v31, v248, v251                           // 00000000B0B4: D1FF00F8 07EFF11F
	v_cndmask_b32_e64 v29, v248, v250, s[78:79]                // 00000000B0BC: D100001D 013BF5F8
	v_and_or_b32 v67, v29, v249, v28                           // 00000000B0C4: D2010043 0473F31D
	v_accvgpr_read_b32 v30, a200                               // 00000000B0CC: D3D8401E 180001C8
	v_accvgpr_read_b32 v31, a201                               // 00000000B0D4: D3D8401F 180001C9
	v_mul_f32_e32 v30, s47, v30                                // 00000000B0DC: 0A3C3C2F
	v_mul_f32_e32 v31, s47, v31                                // 00000000B0E0: 0A3E3E2F
	v_cmp_u_f32_e64 s[78:79], v30, v30                         // 00000000B0E4: D048004E 00023D1E
	v_bfe_u32 v248, v30, 16, 1                                 // 00000000B0EC: D1C800F8 0205211E
	v_add3_u32 v248, v30, v248, v251                           // 00000000B0F4: D1FF00F8 07EFF11E
	v_cndmask_b32_e64 v28, v248, v250, s[78:79]                // 00000000B0FC: D100001C 013BF5F8
	v_lshrrev_b32_e32 v28, 16, v28                             // 00000000B104: 20383890
	v_cmp_u_f32_e64 s[78:79], v31, v31                         // 00000000B108: D048004E 00023F1F
	v_bfe_u32 v248, v31, 16, 1                                 // 00000000B110: D1C800F8 0205211F
	v_add3_u32 v248, v31, v248, v251                           // 00000000B118: D1FF00F8 07EFF11F
	v_cndmask_b32_e64 v29, v248, v250, s[78:79]                // 00000000B120: D100001D 013BF5F8
	v_and_or_b32 v68, v29, v249, v28                           // 00000000B128: D2010044 0473F31D
	v_accvgpr_read_b32 v30, a202                               // 00000000B130: D3D8401E 180001CA
	v_accvgpr_read_b32 v31, a203                               // 00000000B138: D3D8401F 180001CB
	v_mul_f32_e32 v30, s47, v30                                // 00000000B140: 0A3C3C2F
	v_mul_f32_e32 v31, s47, v31                                // 00000000B144: 0A3E3E2F
	v_cmp_u_f32_e64 s[78:79], v30, v30                         // 00000000B148: D048004E 00023D1E
	v_bfe_u32 v248, v30, 16, 1                                 // 00000000B150: D1C800F8 0205211E
	v_add3_u32 v248, v30, v248, v251                           // 00000000B158: D1FF00F8 07EFF11E
	v_cndmask_b32_e64 v28, v248, v250, s[78:79]                // 00000000B160: D100001C 013BF5F8
	v_lshrrev_b32_e32 v28, 16, v28                             // 00000000B168: 20383890
	v_cmp_u_f32_e64 s[78:79], v31, v31                         // 00000000B16C: D048004E 00023F1F
	v_bfe_u32 v248, v31, 16, 1                                 // 00000000B174: D1C800F8 0205211F
	v_add3_u32 v248, v31, v248, v251                           // 00000000B17C: D1FF00F8 07EFF11F
	v_cndmask_b32_e64 v29, v248, v250, s[78:79]                // 00000000B184: D100001D 013BF5F8
	v_and_or_b32 v69, v29, v249, v28                           // 00000000B18C: D2010045 0473F31D
	v_accvgpr_read_b32 v30, a204                               // 00000000B194: D3D8401E 180001CC
	v_accvgpr_read_b32 v31, a205                               // 00000000B19C: D3D8401F 180001CD
	v_mul_f32_e32 v30, s47, v30                                // 00000000B1A4: 0A3C3C2F
	v_mul_f32_e32 v31, s47, v31                                // 00000000B1A8: 0A3E3E2F
	v_cmp_u_f32_e64 s[78:79], v30, v30                         // 00000000B1AC: D048004E 00023D1E
	v_bfe_u32 v248, v30, 16, 1                                 // 00000000B1B4: D1C800F8 0205211E
	v_add3_u32 v248, v30, v248, v251                           // 00000000B1BC: D1FF00F8 07EFF11E
	v_cndmask_b32_e64 v28, v248, v250, s[78:79]                // 00000000B1C4: D100001C 013BF5F8
	v_lshrrev_b32_e32 v28, 16, v28                             // 00000000B1CC: 20383890
	v_cmp_u_f32_e64 s[78:79], v31, v31                         // 00000000B1D0: D048004E 00023F1F
	v_bfe_u32 v248, v31, 16, 1                                 // 00000000B1D8: D1C800F8 0205211F
	v_add3_u32 v248, v31, v248, v251                           // 00000000B1E0: D1FF00F8 07EFF11F
	v_cndmask_b32_e64 v29, v248, v250, s[78:79]                // 00000000B1E8: D100001D 013BF5F8
	v_and_or_b32 v70, v29, v249, v28                           // 00000000B1F0: D2010046 0473F31D
	v_accvgpr_read_b32 v30, a206                               // 00000000B1F8: D3D8401E 180001CE
	v_accvgpr_read_b32 v31, a207                               // 00000000B200: D3D8401F 180001CF
	v_mul_f32_e32 v30, s47, v30                                // 00000000B208: 0A3C3C2F
	v_mul_f32_e32 v31, s47, v31                                // 00000000B20C: 0A3E3E2F
	v_cmp_u_f32_e64 s[78:79], v30, v30                         // 00000000B210: D048004E 00023D1E
	v_bfe_u32 v248, v30, 16, 1                                 // 00000000B218: D1C800F8 0205211E
	v_add3_u32 v248, v30, v248, v251                           // 00000000B220: D1FF00F8 07EFF11E
	v_cndmask_b32_e64 v28, v248, v250, s[78:79]                // 00000000B228: D100001C 013BF5F8
	v_lshrrev_b32_e32 v28, 16, v28                             // 00000000B230: 20383890
	v_cmp_u_f32_e64 s[78:79], v31, v31                         // 00000000B234: D048004E 00023F1F
	v_bfe_u32 v248, v31, 16, 1                                 // 00000000B23C: D1C800F8 0205211F
	v_add3_u32 v248, v31, v248, v251                           // 00000000B244: D1FF00F8 07EFF11F
	v_cndmask_b32_e64 v29, v248, v250, s[78:79]                // 00000000B24C: D100001D 013BF5F8
	v_and_or_b32 v71, v29, v249, v28                           // 00000000B254: D2010047 0473F31D
	v_accvgpr_read_b32 v30, a208                               // 00000000B25C: D3D8401E 180001D0
	v_accvgpr_read_b32 v31, a209                               // 00000000B264: D3D8401F 180001D1
	v_mul_f32_e32 v30, s47, v30                                // 00000000B26C: 0A3C3C2F
	v_mul_f32_e32 v31, s47, v31                                // 00000000B270: 0A3E3E2F
	v_cmp_u_f32_e64 s[78:79], v30, v30                         // 00000000B274: D048004E 00023D1E
	v_bfe_u32 v248, v30, 16, 1                                 // 00000000B27C: D1C800F8 0205211E
	v_add3_u32 v248, v30, v248, v251                           // 00000000B284: D1FF00F8 07EFF11E
	v_cndmask_b32_e64 v28, v248, v250, s[78:79]                // 00000000B28C: D100001C 013BF5F8
	v_lshrrev_b32_e32 v28, 16, v28                             // 00000000B294: 20383890
	v_cmp_u_f32_e64 s[78:79], v31, v31                         // 00000000B298: D048004E 00023F1F
	v_bfe_u32 v248, v31, 16, 1                                 // 00000000B2A0: D1C800F8 0205211F
	v_add3_u32 v248, v31, v248, v251                           // 00000000B2A8: D1FF00F8 07EFF11F
	v_cndmask_b32_e64 v29, v248, v250, s[78:79]                // 00000000B2B0: D100001D 013BF5F8
	v_and_or_b32 v72, v29, v249, v28                           // 00000000B2B8: D2010048 0473F31D
	v_accvgpr_read_b32 v30, a210                               // 00000000B2C0: D3D8401E 180001D2
	v_accvgpr_read_b32 v31, a211                               // 00000000B2C8: D3D8401F 180001D3
	v_mul_f32_e32 v30, s47, v30                                // 00000000B2D0: 0A3C3C2F
	v_mul_f32_e32 v31, s47, v31                                // 00000000B2D4: 0A3E3E2F
	v_cmp_u_f32_e64 s[78:79], v30, v30                         // 00000000B2D8: D048004E 00023D1E
	v_bfe_u32 v248, v30, 16, 1                                 // 00000000B2E0: D1C800F8 0205211E
	v_add3_u32 v248, v30, v248, v251                           // 00000000B2E8: D1FF00F8 07EFF11E
	v_cndmask_b32_e64 v28, v248, v250, s[78:79]                // 00000000B2F0: D100001C 013BF5F8
	v_lshrrev_b32_e32 v28, 16, v28                             // 00000000B2F8: 20383890
	v_cmp_u_f32_e64 s[78:79], v31, v31                         // 00000000B2FC: D048004E 00023F1F
	v_bfe_u32 v248, v31, 16, 1                                 // 00000000B304: D1C800F8 0205211F
	v_add3_u32 v248, v31, v248, v251                           // 00000000B30C: D1FF00F8 07EFF11F
	v_cndmask_b32_e64 v29, v248, v250, s[78:79]                // 00000000B314: D100001D 013BF5F8
	v_and_or_b32 v73, v29, v249, v28                           // 00000000B31C: D2010049 0473F31D
	v_accvgpr_read_b32 v30, a212                               // 00000000B324: D3D8401E 180001D4
	v_accvgpr_read_b32 v31, a213                               // 00000000B32C: D3D8401F 180001D5
	v_mul_f32_e32 v30, s47, v30                                // 00000000B334: 0A3C3C2F
	v_mul_f32_e32 v31, s47, v31                                // 00000000B338: 0A3E3E2F
	v_cmp_u_f32_e64 s[78:79], v30, v30                         // 00000000B33C: D048004E 00023D1E
	v_bfe_u32 v248, v30, 16, 1                                 // 00000000B344: D1C800F8 0205211E
	v_add3_u32 v248, v30, v248, v251                           // 00000000B34C: D1FF00F8 07EFF11E
	v_cndmask_b32_e64 v28, v248, v250, s[78:79]                // 00000000B354: D100001C 013BF5F8
	v_lshrrev_b32_e32 v28, 16, v28                             // 00000000B35C: 20383890
	v_cmp_u_f32_e64 s[78:79], v31, v31                         // 00000000B360: D048004E 00023F1F
	v_bfe_u32 v248, v31, 16, 1                                 // 00000000B368: D1C800F8 0205211F
	v_add3_u32 v248, v31, v248, v251                           // 00000000B370: D1FF00F8 07EFF11F
	v_cndmask_b32_e64 v29, v248, v250, s[78:79]                // 00000000B378: D100001D 013BF5F8
	v_and_or_b32 v74, v29, v249, v28                           // 00000000B380: D201004A 0473F31D
	v_accvgpr_read_b32 v30, a214                               // 00000000B388: D3D8401E 180001D6
	v_accvgpr_read_b32 v31, a215                               // 00000000B390: D3D8401F 180001D7
	v_mul_f32_e32 v30, s47, v30                                // 00000000B398: 0A3C3C2F
	v_mul_f32_e32 v31, s47, v31                                // 00000000B39C: 0A3E3E2F
	v_cmp_u_f32_e64 s[78:79], v30, v30                         // 00000000B3A0: D048004E 00023D1E
	v_bfe_u32 v248, v30, 16, 1                                 // 00000000B3A8: D1C800F8 0205211E
	v_add3_u32 v248, v30, v248, v251                           // 00000000B3B0: D1FF00F8 07EFF11E
	v_cndmask_b32_e64 v28, v248, v250, s[78:79]                // 00000000B3B8: D100001C 013BF5F8
	v_lshrrev_b32_e32 v28, 16, v28                             // 00000000B3C0: 20383890
	v_cmp_u_f32_e64 s[78:79], v31, v31                         // 00000000B3C4: D048004E 00023F1F
	v_bfe_u32 v248, v31, 16, 1                                 // 00000000B3CC: D1C800F8 0205211F
	v_add3_u32 v248, v31, v248, v251                           // 00000000B3D4: D1FF00F8 07EFF11F
	v_cndmask_b32_e64 v29, v248, v250, s[78:79]                // 00000000B3DC: D100001D 013BF5F8
	v_and_or_b32 v75, v29, v249, v28                           // 00000000B3E4: D201004B 0473F31D
	v_accvgpr_read_b32 v30, a216                               // 00000000B3EC: D3D8401E 180001D8
	v_accvgpr_read_b32 v31, a217                               // 00000000B3F4: D3D8401F 180001D9
	v_mul_f32_e32 v30, s47, v30                                // 00000000B3FC: 0A3C3C2F
	v_mul_f32_e32 v31, s47, v31                                // 00000000B400: 0A3E3E2F
	v_cmp_u_f32_e64 s[78:79], v30, v30                         // 00000000B404: D048004E 00023D1E
	v_bfe_u32 v248, v30, 16, 1                                 // 00000000B40C: D1C800F8 0205211E
	v_add3_u32 v248, v30, v248, v251                           // 00000000B414: D1FF00F8 07EFF11E
	v_cndmask_b32_e64 v28, v248, v250, s[78:79]                // 00000000B41C: D100001C 013BF5F8
	v_lshrrev_b32_e32 v28, 16, v28                             // 00000000B424: 20383890
	v_cmp_u_f32_e64 s[78:79], v31, v31                         // 00000000B428: D048004E 00023F1F
	v_bfe_u32 v248, v31, 16, 1                                 // 00000000B430: D1C800F8 0205211F
	v_add3_u32 v248, v31, v248, v251                           // 00000000B438: D1FF00F8 07EFF11F
	v_cndmask_b32_e64 v29, v248, v250, s[78:79]                // 00000000B440: D100001D 013BF5F8
	v_and_or_b32 v76, v29, v249, v28                           // 00000000B448: D201004C 0473F31D
	v_accvgpr_read_b32 v30, a218                               // 00000000B450: D3D8401E 180001DA
	v_accvgpr_read_b32 v31, a219                               // 00000000B458: D3D8401F 180001DB
	v_mul_f32_e32 v30, s47, v30                                // 00000000B460: 0A3C3C2F
	v_mul_f32_e32 v31, s47, v31                                // 00000000B464: 0A3E3E2F
	v_cmp_u_f32_e64 s[78:79], v30, v30                         // 00000000B468: D048004E 00023D1E
	v_bfe_u32 v248, v30, 16, 1                                 // 00000000B470: D1C800F8 0205211E
	v_add3_u32 v248, v30, v248, v251                           // 00000000B478: D1FF00F8 07EFF11E
	v_cndmask_b32_e64 v28, v248, v250, s[78:79]                // 00000000B480: D100001C 013BF5F8
	v_lshrrev_b32_e32 v28, 16, v28                             // 00000000B488: 20383890
	v_cmp_u_f32_e64 s[78:79], v31, v31                         // 00000000B48C: D048004E 00023F1F
	v_bfe_u32 v248, v31, 16, 1                                 // 00000000B494: D1C800F8 0205211F
	v_add3_u32 v248, v31, v248, v251                           // 00000000B49C: D1FF00F8 07EFF11F
	v_cndmask_b32_e64 v29, v248, v250, s[78:79]                // 00000000B4A4: D100001D 013BF5F8
	v_and_or_b32 v77, v29, v249, v28                           // 00000000B4AC: D201004D 0473F31D
	v_accvgpr_read_b32 v30, a220                               // 00000000B4B4: D3D8401E 180001DC
	v_accvgpr_read_b32 v31, a221                               // 00000000B4BC: D3D8401F 180001DD
	v_mul_f32_e32 v30, s47, v30                                // 00000000B4C4: 0A3C3C2F
	v_mul_f32_e32 v31, s47, v31                                // 00000000B4C8: 0A3E3E2F
	v_cmp_u_f32_e64 s[78:79], v30, v30                         // 00000000B4CC: D048004E 00023D1E
	v_bfe_u32 v248, v30, 16, 1                                 // 00000000B4D4: D1C800F8 0205211E
	v_add3_u32 v248, v30, v248, v251                           // 00000000B4DC: D1FF00F8 07EFF11E
	v_cndmask_b32_e64 v28, v248, v250, s[78:79]                // 00000000B4E4: D100001C 013BF5F8
	v_lshrrev_b32_e32 v28, 16, v28                             // 00000000B4EC: 20383890
	v_cmp_u_f32_e64 s[78:79], v31, v31                         // 00000000B4F0: D048004E 00023F1F
	v_bfe_u32 v248, v31, 16, 1                                 // 00000000B4F8: D1C800F8 0205211F
	v_add3_u32 v248, v31, v248, v251                           // 00000000B500: D1FF00F8 07EFF11F
	v_cndmask_b32_e64 v29, v248, v250, s[78:79]                // 00000000B508: D100001D 013BF5F8
	v_and_or_b32 v78, v29, v249, v28                           // 00000000B510: D201004E 0473F31D
	v_accvgpr_read_b32 v30, a222                               // 00000000B518: D3D8401E 180001DE
	v_accvgpr_read_b32 v31, a223                               // 00000000B520: D3D8401F 180001DF
	v_mul_f32_e32 v30, s47, v30                                // 00000000B528: 0A3C3C2F
	v_mul_f32_e32 v31, s47, v31                                // 00000000B52C: 0A3E3E2F
	v_cmp_u_f32_e64 s[78:79], v30, v30                         // 00000000B530: D048004E 00023D1E
	v_bfe_u32 v248, v30, 16, 1                                 // 00000000B538: D1C800F8 0205211E
	v_add3_u32 v248, v30, v248, v251                           // 00000000B540: D1FF00F8 07EFF11E
	v_cndmask_b32_e64 v28, v248, v250, s[78:79]                // 00000000B548: D100001C 013BF5F8
	v_lshrrev_b32_e32 v28, 16, v28                             // 00000000B550: 20383890
	v_cmp_u_f32_e64 s[78:79], v31, v31                         // 00000000B554: D048004E 00023F1F
	v_bfe_u32 v248, v31, 16, 1                                 // 00000000B55C: D1C800F8 0205211F
	v_add3_u32 v248, v31, v248, v251                           // 00000000B564: D1FF00F8 07EFF11F
	v_cndmask_b32_e64 v29, v248, v250, s[78:79]                // 00000000B56C: D100001D 013BF5F8
	v_and_or_b32 v79, v29, v249, v28                           // 00000000B574: D201004F 0473F31D
	ds_write_b64 v25, v[64:65] offset:16896                    // 00000000B57C: D89A4200 00004019
	ds_write_b64 v25, v[66:67] offset:17424                    // 00000000B584: D89A4410 00004219
	ds_write_b64 v25, v[68:69] offset:17952                    // 00000000B58C: D89A4620 00004419
	ds_write_b64 v25, v[70:71] offset:18480                    // 00000000B594: D89A4830 00004619
	ds_write_b64 v25, v[72:73] offset:19008                    // 00000000B59C: D89A4A40 00004819
	ds_write_b64 v25, v[74:75] offset:19536                    // 00000000B5A4: D89A4C50 00004A19
	ds_write_b64 v25, v[76:77] offset:20064                    // 00000000B5AC: D89A4E60 00004C19
	ds_write_b64 v25, v[78:79] offset:20592                    // 00000000B5B4: D89A5070 00004E19
	s_waitcnt lgkmcnt(0)                                       // 00000000B5BC: BF8CC07F
	s_barrier                                                  // 00000000B5C0: BF8A0000
	ds_read_b64 v[64:65], v24 offset:16896                     // 00000000B5C4: D8EC4200 40000018
	ds_read_b64 v[66:67], v24 offset:17024                     // 00000000B5CC: D8EC4280 42000018
	ds_read_b64 v[68:69], v24 offset:16928                     // 00000000B5D4: D8EC4220 44000018
	ds_read_b64 v[70:71], v24 offset:17056                     // 00000000B5DC: D8EC42A0 46000018
	ds_read_b64 v[72:73], v24 offset:16960                     // 00000000B5E4: D8EC4240 48000018
	ds_read_b64 v[74:75], v24 offset:17088                     // 00000000B5EC: D8EC42C0 4A000018
	ds_read_b64 v[76:77], v24 offset:16992                     // 00000000B5F4: D8EC4260 4C000018
	ds_read_b64 v[78:79], v24 offset:17120                     // 00000000B5FC: D8EC42E0 4E000018
	s_waitcnt lgkmcnt(0)                                       // 00000000B604: BF8CC07F
	s_mov_b32 s70, s52                                         // 00000000B608: BEC60034
	s_mov_b64 exec, s[92:93]                                   // 00000000B60C: BEFE015C
	buffer_store_dwordx4 v[64:67], v5, s[36:39], 0 idxen       // 00000000B610: E07C2000 80094005
	s_mov_b32 exec_lo, -1                                      // 00000000B618: BEFE00C1
	s_mov_b32 exec_hi, -1                                      // 00000000B61C: BEFF00C1
	v_add_u32_e32 v5, s70, v5                                  // 00000000B620: 680A0A46
	s_mov_b64 exec, s[92:93]                                   // 00000000B624: BEFE015C
	buffer_store_dwordx4 v[68:71], v5, s[36:39], 0 idxen       // 00000000B628: E07C2000 80094405
	s_mov_b32 exec_lo, -1                                      // 00000000B630: BEFE00C1
	s_mov_b32 exec_hi, -1                                      // 00000000B634: BEFF00C1
	v_add_u32_e32 v5, s70, v5                                  // 00000000B638: 680A0A46
	s_mov_b64 exec, s[92:93]                                   // 00000000B63C: BEFE015C
	buffer_store_dwordx4 v[72:75], v5, s[36:39], 0 idxen       // 00000000B640: E07C2000 80094805
	s_mov_b32 exec_lo, -1                                      // 00000000B648: BEFE00C1
	s_mov_b32 exec_hi, -1                                      // 00000000B64C: BEFF00C1
	v_add_u32_e32 v5, s70, v5                                  // 00000000B650: 680A0A46
	s_mov_b64 exec, s[92:93]                                   // 00000000B654: BEFE015C
	buffer_store_dwordx4 v[76:79], v5, s[36:39], 0 idxen       // 00000000B658: E07C2000 80094C05
	s_mov_b32 exec_lo, -1                                      // 00000000B660: BEFE00C1
	s_mov_b32 exec_hi, -1                                      // 00000000B664: BEFF00C1
	v_add_u32_e32 v5, s70, v5                                  // 00000000B668: 680A0A46
	s_mul_i32 s60, 12, s70                                     // 00000000B66C: 923C468C
	v_add_u32_e32 v5, s60, v5                                  // 00000000B670: 680A0A3C
	s_barrier                                                  // 00000000B674: BF8A0000
	s_cmp_ge_i32 2, s72                                        // 00000000B678: BF034882
	s_cbranch_scc1 label_2005                                  // 00000000B67C: BF8501D1
	v_accvgpr_read_b32 v30, a224                               // 00000000B680: D3D8401E 180001E0
	v_accvgpr_read_b32 v31, a225                               // 00000000B688: D3D8401F 180001E1
	v_mul_f32_e32 v30, s47, v30                                // 00000000B690: 0A3C3C2F
	v_mul_f32_e32 v31, s47, v31                                // 00000000B694: 0A3E3E2F
	v_cmp_u_f32_e64 s[78:79], v30, v30                         // 00000000B698: D048004E 00023D1E
	v_bfe_u32 v248, v30, 16, 1                                 // 00000000B6A0: D1C800F8 0205211E
	v_add3_u32 v248, v30, v248, v251                           // 00000000B6A8: D1FF00F8 07EFF11E
	v_cndmask_b32_e64 v28, v248, v250, s[78:79]                // 00000000B6B0: D100001C 013BF5F8
	v_lshrrev_b32_e32 v28, 16, v28                             // 00000000B6B8: 20383890
	v_cmp_u_f32_e64 s[78:79], v31, v31                         // 00000000B6BC: D048004E 00023F1F
	v_bfe_u32 v248, v31, 16, 1                                 // 00000000B6C4: D1C800F8 0205211F
	v_add3_u32 v248, v31, v248, v251                           // 00000000B6CC: D1FF00F8 07EFF11F
	v_cndmask_b32_e64 v29, v248, v250, s[78:79]                // 00000000B6D4: D100001D 013BF5F8
	v_and_or_b32 v80, v29, v249, v28                           // 00000000B6DC: D2010050 0473F31D
	v_accvgpr_read_b32 v30, a226                               // 00000000B6E4: D3D8401E 180001E2
	v_accvgpr_read_b32 v31, a227                               // 00000000B6EC: D3D8401F 180001E3
	v_mul_f32_e32 v30, s47, v30                                // 00000000B6F4: 0A3C3C2F
	v_mul_f32_e32 v31, s47, v31                                // 00000000B6F8: 0A3E3E2F
	v_cmp_u_f32_e64 s[78:79], v30, v30                         // 00000000B6FC: D048004E 00023D1E
	v_bfe_u32 v248, v30, 16, 1                                 // 00000000B704: D1C800F8 0205211E
	v_add3_u32 v248, v30, v248, v251                           // 00000000B70C: D1FF00F8 07EFF11E
	v_cndmask_b32_e64 v28, v248, v250, s[78:79]                // 00000000B714: D100001C 013BF5F8
	v_lshrrev_b32_e32 v28, 16, v28                             // 00000000B71C: 20383890
	v_cmp_u_f32_e64 s[78:79], v31, v31                         // 00000000B720: D048004E 00023F1F
	v_bfe_u32 v248, v31, 16, 1                                 // 00000000B728: D1C800F8 0205211F
	v_add3_u32 v248, v31, v248, v251                           // 00000000B730: D1FF00F8 07EFF11F
	v_cndmask_b32_e64 v29, v248, v250, s[78:79]                // 00000000B738: D100001D 013BF5F8
	v_and_or_b32 v81, v29, v249, v28                           // 00000000B740: D2010051 0473F31D
	v_accvgpr_read_b32 v30, a228                               // 00000000B748: D3D8401E 180001E4
	v_accvgpr_read_b32 v31, a229                               // 00000000B750: D3D8401F 180001E5
	v_mul_f32_e32 v30, s47, v30                                // 00000000B758: 0A3C3C2F
	v_mul_f32_e32 v31, s47, v31                                // 00000000B75C: 0A3E3E2F
	v_cmp_u_f32_e64 s[78:79], v30, v30                         // 00000000B760: D048004E 00023D1E
	v_bfe_u32 v248, v30, 16, 1                                 // 00000000B768: D1C800F8 0205211E
	v_add3_u32 v248, v30, v248, v251                           // 00000000B770: D1FF00F8 07EFF11E
	v_cndmask_b32_e64 v28, v248, v250, s[78:79]                // 00000000B778: D100001C 013BF5F8
	v_lshrrev_b32_e32 v28, 16, v28                             // 00000000B780: 20383890
	v_cmp_u_f32_e64 s[78:79], v31, v31                         // 00000000B784: D048004E 00023F1F
	v_bfe_u32 v248, v31, 16, 1                                 // 00000000B78C: D1C800F8 0205211F
	v_add3_u32 v248, v31, v248, v251                           // 00000000B794: D1FF00F8 07EFF11F
	v_cndmask_b32_e64 v29, v248, v250, s[78:79]                // 00000000B79C: D100001D 013BF5F8
	v_and_or_b32 v82, v29, v249, v28                           // 00000000B7A4: D2010052 0473F31D
	v_accvgpr_read_b32 v30, a230                               // 00000000B7AC: D3D8401E 180001E6
	v_accvgpr_read_b32 v31, a231                               // 00000000B7B4: D3D8401F 180001E7
	v_mul_f32_e32 v30, s47, v30                                // 00000000B7BC: 0A3C3C2F
	v_mul_f32_e32 v31, s47, v31                                // 00000000B7C0: 0A3E3E2F
	v_cmp_u_f32_e64 s[78:79], v30, v30                         // 00000000B7C4: D048004E 00023D1E
	v_bfe_u32 v248, v30, 16, 1                                 // 00000000B7CC: D1C800F8 0205211E
	v_add3_u32 v248, v30, v248, v251                           // 00000000B7D4: D1FF00F8 07EFF11E
	v_cndmask_b32_e64 v28, v248, v250, s[78:79]                // 00000000B7DC: D100001C 013BF5F8
	v_lshrrev_b32_e32 v28, 16, v28                             // 00000000B7E4: 20383890
	v_cmp_u_f32_e64 s[78:79], v31, v31                         // 00000000B7E8: D048004E 00023F1F
	v_bfe_u32 v248, v31, 16, 1                                 // 00000000B7F0: D1C800F8 0205211F
	v_add3_u32 v248, v31, v248, v251                           // 00000000B7F8: D1FF00F8 07EFF11F
	v_cndmask_b32_e64 v29, v248, v250, s[78:79]                // 00000000B800: D100001D 013BF5F8
	v_and_or_b32 v83, v29, v249, v28                           // 00000000B808: D2010053 0473F31D
	v_accvgpr_read_b32 v30, a232                               // 00000000B810: D3D8401E 180001E8
	v_accvgpr_read_b32 v31, a233                               // 00000000B818: D3D8401F 180001E9
	v_mul_f32_e32 v30, s47, v30                                // 00000000B820: 0A3C3C2F
	v_mul_f32_e32 v31, s47, v31                                // 00000000B824: 0A3E3E2F
	v_cmp_u_f32_e64 s[78:79], v30, v30                         // 00000000B828: D048004E 00023D1E
	v_bfe_u32 v248, v30, 16, 1                                 // 00000000B830: D1C800F8 0205211E
	v_add3_u32 v248, v30, v248, v251                           // 00000000B838: D1FF00F8 07EFF11E
	v_cndmask_b32_e64 v28, v248, v250, s[78:79]                // 00000000B840: D100001C 013BF5F8
	v_lshrrev_b32_e32 v28, 16, v28                             // 00000000B848: 20383890
	v_cmp_u_f32_e64 s[78:79], v31, v31                         // 00000000B84C: D048004E 00023F1F
	v_bfe_u32 v248, v31, 16, 1                                 // 00000000B854: D1C800F8 0205211F
	v_add3_u32 v248, v31, v248, v251                           // 00000000B85C: D1FF00F8 07EFF11F
	v_cndmask_b32_e64 v29, v248, v250, s[78:79]                // 00000000B864: D100001D 013BF5F8
	v_and_or_b32 v84, v29, v249, v28                           // 00000000B86C: D2010054 0473F31D
	v_accvgpr_read_b32 v30, a234                               // 00000000B874: D3D8401E 180001EA
	v_accvgpr_read_b32 v31, a235                               // 00000000B87C: D3D8401F 180001EB
	v_mul_f32_e32 v30, s47, v30                                // 00000000B884: 0A3C3C2F
	v_mul_f32_e32 v31, s47, v31                                // 00000000B888: 0A3E3E2F
	v_cmp_u_f32_e64 s[78:79], v30, v30                         // 00000000B88C: D048004E 00023D1E
	v_bfe_u32 v248, v30, 16, 1                                 // 00000000B894: D1C800F8 0205211E
	v_add3_u32 v248, v30, v248, v251                           // 00000000B89C: D1FF00F8 07EFF11E
	v_cndmask_b32_e64 v28, v248, v250, s[78:79]                // 00000000B8A4: D100001C 013BF5F8
	v_lshrrev_b32_e32 v28, 16, v28                             // 00000000B8AC: 20383890
	v_cmp_u_f32_e64 s[78:79], v31, v31                         // 00000000B8B0: D048004E 00023F1F
	v_bfe_u32 v248, v31, 16, 1                                 // 00000000B8B8: D1C800F8 0205211F
	v_add3_u32 v248, v31, v248, v251                           // 00000000B8C0: D1FF00F8 07EFF11F
	v_cndmask_b32_e64 v29, v248, v250, s[78:79]                // 00000000B8C8: D100001D 013BF5F8
	v_and_or_b32 v85, v29, v249, v28                           // 00000000B8D0: D2010055 0473F31D
	v_accvgpr_read_b32 v30, a236                               // 00000000B8D8: D3D8401E 180001EC
	v_accvgpr_read_b32 v31, a237                               // 00000000B8E0: D3D8401F 180001ED
	v_mul_f32_e32 v30, s47, v30                                // 00000000B8E8: 0A3C3C2F
	v_mul_f32_e32 v31, s47, v31                                // 00000000B8EC: 0A3E3E2F
	v_cmp_u_f32_e64 s[78:79], v30, v30                         // 00000000B8F0: D048004E 00023D1E
	v_bfe_u32 v248, v30, 16, 1                                 // 00000000B8F8: D1C800F8 0205211E
	v_add3_u32 v248, v30, v248, v251                           // 00000000B900: D1FF00F8 07EFF11E
	v_cndmask_b32_e64 v28, v248, v250, s[78:79]                // 00000000B908: D100001C 013BF5F8
	v_lshrrev_b32_e32 v28, 16, v28                             // 00000000B910: 20383890
	v_cmp_u_f32_e64 s[78:79], v31, v31                         // 00000000B914: D048004E 00023F1F
	v_bfe_u32 v248, v31, 16, 1                                 // 00000000B91C: D1C800F8 0205211F
	v_add3_u32 v248, v31, v248, v251                           // 00000000B924: D1FF00F8 07EFF11F
	v_cndmask_b32_e64 v29, v248, v250, s[78:79]                // 00000000B92C: D100001D 013BF5F8
	v_and_or_b32 v86, v29, v249, v28                           // 00000000B934: D2010056 0473F31D
	v_accvgpr_read_b32 v30, a238                               // 00000000B93C: D3D8401E 180001EE
	v_accvgpr_read_b32 v31, a239                               // 00000000B944: D3D8401F 180001EF
	v_mul_f32_e32 v30, s47, v30                                // 00000000B94C: 0A3C3C2F
	v_mul_f32_e32 v31, s47, v31                                // 00000000B950: 0A3E3E2F
	v_cmp_u_f32_e64 s[78:79], v30, v30                         // 00000000B954: D048004E 00023D1E
	v_bfe_u32 v248, v30, 16, 1                                 // 00000000B95C: D1C800F8 0205211E
	v_add3_u32 v248, v30, v248, v251                           // 00000000B964: D1FF00F8 07EFF11E
	v_cndmask_b32_e64 v28, v248, v250, s[78:79]                // 00000000B96C: D100001C 013BF5F8
	v_lshrrev_b32_e32 v28, 16, v28                             // 00000000B974: 20383890
	v_cmp_u_f32_e64 s[78:79], v31, v31                         // 00000000B978: D048004E 00023F1F
	v_bfe_u32 v248, v31, 16, 1                                 // 00000000B980: D1C800F8 0205211F
	v_add3_u32 v248, v31, v248, v251                           // 00000000B988: D1FF00F8 07EFF11F
	v_cndmask_b32_e64 v29, v248, v250, s[78:79]                // 00000000B990: D100001D 013BF5F8
	v_and_or_b32 v87, v29, v249, v28                           // 00000000B998: D2010057 0473F31D
	v_accvgpr_read_b32 v30, a240                               // 00000000B9A0: D3D8401E 180001F0
	v_accvgpr_read_b32 v31, a241                               // 00000000B9A8: D3D8401F 180001F1
	v_mul_f32_e32 v30, s47, v30                                // 00000000B9B0: 0A3C3C2F
	v_mul_f32_e32 v31, s47, v31                                // 00000000B9B4: 0A3E3E2F
	v_cmp_u_f32_e64 s[78:79], v30, v30                         // 00000000B9B8: D048004E 00023D1E
	v_bfe_u32 v248, v30, 16, 1                                 // 00000000B9C0: D1C800F8 0205211E
	v_add3_u32 v248, v30, v248, v251                           // 00000000B9C8: D1FF00F8 07EFF11E
	v_cndmask_b32_e64 v28, v248, v250, s[78:79]                // 00000000B9D0: D100001C 013BF5F8
	v_lshrrev_b32_e32 v28, 16, v28                             // 00000000B9D8: 20383890
	v_cmp_u_f32_e64 s[78:79], v31, v31                         // 00000000B9DC: D048004E 00023F1F
	v_bfe_u32 v248, v31, 16, 1                                 // 00000000B9E4: D1C800F8 0205211F
	v_add3_u32 v248, v31, v248, v251                           // 00000000B9EC: D1FF00F8 07EFF11F
	v_cndmask_b32_e64 v29, v248, v250, s[78:79]                // 00000000B9F4: D100001D 013BF5F8
	v_and_or_b32 v88, v29, v249, v28                           // 00000000B9FC: D2010058 0473F31D
	v_accvgpr_read_b32 v30, a242                               // 00000000BA04: D3D8401E 180001F2
	v_accvgpr_read_b32 v31, a243                               // 00000000BA0C: D3D8401F 180001F3
	v_mul_f32_e32 v30, s47, v30                                // 00000000BA14: 0A3C3C2F
	v_mul_f32_e32 v31, s47, v31                                // 00000000BA18: 0A3E3E2F
	v_cmp_u_f32_e64 s[78:79], v30, v30                         // 00000000BA1C: D048004E 00023D1E
	v_bfe_u32 v248, v30, 16, 1                                 // 00000000BA24: D1C800F8 0205211E
	v_add3_u32 v248, v30, v248, v251                           // 00000000BA2C: D1FF00F8 07EFF11E
	v_cndmask_b32_e64 v28, v248, v250, s[78:79]                // 00000000BA34: D100001C 013BF5F8
	v_lshrrev_b32_e32 v28, 16, v28                             // 00000000BA3C: 20383890
	v_cmp_u_f32_e64 s[78:79], v31, v31                         // 00000000BA40: D048004E 00023F1F
	v_bfe_u32 v248, v31, 16, 1                                 // 00000000BA48: D1C800F8 0205211F
	v_add3_u32 v248, v31, v248, v251                           // 00000000BA50: D1FF00F8 07EFF11F
	v_cndmask_b32_e64 v29, v248, v250, s[78:79]                // 00000000BA58: D100001D 013BF5F8
	v_and_or_b32 v89, v29, v249, v28                           // 00000000BA60: D2010059 0473F31D
	v_accvgpr_read_b32 v30, a244                               // 00000000BA68: D3D8401E 180001F4
	v_accvgpr_read_b32 v31, a245                               // 00000000BA70: D3D8401F 180001F5
	v_mul_f32_e32 v30, s47, v30                                // 00000000BA78: 0A3C3C2F
	v_mul_f32_e32 v31, s47, v31                                // 00000000BA7C: 0A3E3E2F
	v_cmp_u_f32_e64 s[78:79], v30, v30                         // 00000000BA80: D048004E 00023D1E
	v_bfe_u32 v248, v30, 16, 1                                 // 00000000BA88: D1C800F8 0205211E
	v_add3_u32 v248, v30, v248, v251                           // 00000000BA90: D1FF00F8 07EFF11E
	v_cndmask_b32_e64 v28, v248, v250, s[78:79]                // 00000000BA98: D100001C 013BF5F8
	v_lshrrev_b32_e32 v28, 16, v28                             // 00000000BAA0: 20383890
	v_cmp_u_f32_e64 s[78:79], v31, v31                         // 00000000BAA4: D048004E 00023F1F
	v_bfe_u32 v248, v31, 16, 1                                 // 00000000BAAC: D1C800F8 0205211F
	v_add3_u32 v248, v31, v248, v251                           // 00000000BAB4: D1FF00F8 07EFF11F
	v_cndmask_b32_e64 v29, v248, v250, s[78:79]                // 00000000BABC: D100001D 013BF5F8
	v_and_or_b32 v90, v29, v249, v28                           // 00000000BAC4: D201005A 0473F31D
	v_accvgpr_read_b32 v30, a246                               // 00000000BACC: D3D8401E 180001F6
	v_accvgpr_read_b32 v31, a247                               // 00000000BAD4: D3D8401F 180001F7
	v_mul_f32_e32 v30, s47, v30                                // 00000000BADC: 0A3C3C2F
	v_mul_f32_e32 v31, s47, v31                                // 00000000BAE0: 0A3E3E2F
	v_cmp_u_f32_e64 s[78:79], v30, v30                         // 00000000BAE4: D048004E 00023D1E
	v_bfe_u32 v248, v30, 16, 1                                 // 00000000BAEC: D1C800F8 0205211E
	v_add3_u32 v248, v30, v248, v251                           // 00000000BAF4: D1FF00F8 07EFF11E
	v_cndmask_b32_e64 v28, v248, v250, s[78:79]                // 00000000BAFC: D100001C 013BF5F8
	v_lshrrev_b32_e32 v28, 16, v28                             // 00000000BB04: 20383890
	v_cmp_u_f32_e64 s[78:79], v31, v31                         // 00000000BB08: D048004E 00023F1F
	v_bfe_u32 v248, v31, 16, 1                                 // 00000000BB10: D1C800F8 0205211F
	v_add3_u32 v248, v31, v248, v251                           // 00000000BB18: D1FF00F8 07EFF11F
	v_cndmask_b32_e64 v29, v248, v250, s[78:79]                // 00000000BB20: D100001D 013BF5F8
	v_and_or_b32 v91, v29, v249, v28                           // 00000000BB28: D201005B 0473F31D
	v_accvgpr_read_b32 v30, a248                               // 00000000BB30: D3D8401E 180001F8
	v_accvgpr_read_b32 v31, a249                               // 00000000BB38: D3D8401F 180001F9
	v_mul_f32_e32 v30, s47, v30                                // 00000000BB40: 0A3C3C2F
	v_mul_f32_e32 v31, s47, v31                                // 00000000BB44: 0A3E3E2F
	v_cmp_u_f32_e64 s[78:79], v30, v30                         // 00000000BB48: D048004E 00023D1E
	v_bfe_u32 v248, v30, 16, 1                                 // 00000000BB50: D1C800F8 0205211E
	v_add3_u32 v248, v30, v248, v251                           // 00000000BB58: D1FF00F8 07EFF11E
	v_cndmask_b32_e64 v28, v248, v250, s[78:79]                // 00000000BB60: D100001C 013BF5F8
	v_lshrrev_b32_e32 v28, 16, v28                             // 00000000BB68: 20383890
	v_cmp_u_f32_e64 s[78:79], v31, v31                         // 00000000BB6C: D048004E 00023F1F
	v_bfe_u32 v248, v31, 16, 1                                 // 00000000BB74: D1C800F8 0205211F
	v_add3_u32 v248, v31, v248, v251                           // 00000000BB7C: D1FF00F8 07EFF11F
	v_cndmask_b32_e64 v29, v248, v250, s[78:79]                // 00000000BB84: D100001D 013BF5F8
	v_and_or_b32 v92, v29, v249, v28                           // 00000000BB8C: D201005C 0473F31D
	v_accvgpr_read_b32 v30, a250                               // 00000000BB94: D3D8401E 180001FA
	v_accvgpr_read_b32 v31, a251                               // 00000000BB9C: D3D8401F 180001FB
	v_mul_f32_e32 v30, s47, v30                                // 00000000BBA4: 0A3C3C2F
	v_mul_f32_e32 v31, s47, v31                                // 00000000BBA8: 0A3E3E2F
	v_cmp_u_f32_e64 s[78:79], v30, v30                         // 00000000BBAC: D048004E 00023D1E
	v_bfe_u32 v248, v30, 16, 1                                 // 00000000BBB4: D1C800F8 0205211E
	v_add3_u32 v248, v30, v248, v251                           // 00000000BBBC: D1FF00F8 07EFF11E
	v_cndmask_b32_e64 v28, v248, v250, s[78:79]                // 00000000BBC4: D100001C 013BF5F8
	v_lshrrev_b32_e32 v28, 16, v28                             // 00000000BBCC: 20383890
	v_cmp_u_f32_e64 s[78:79], v31, v31                         // 00000000BBD0: D048004E 00023F1F
	v_bfe_u32 v248, v31, 16, 1                                 // 00000000BBD8: D1C800F8 0205211F
	v_add3_u32 v248, v31, v248, v251                           // 00000000BBE0: D1FF00F8 07EFF11F
	v_cndmask_b32_e64 v29, v248, v250, s[78:79]                // 00000000BBE8: D100001D 013BF5F8
	v_and_or_b32 v93, v29, v249, v28                           // 00000000BBF0: D201005D 0473F31D
	v_accvgpr_read_b32 v30, a252                               // 00000000BBF8: D3D8401E 180001FC
	v_accvgpr_read_b32 v31, a253                               // 00000000BC00: D3D8401F 180001FD
	v_mul_f32_e32 v30, s47, v30                                // 00000000BC08: 0A3C3C2F
	v_mul_f32_e32 v31, s47, v31                                // 00000000BC0C: 0A3E3E2F
	v_cmp_u_f32_e64 s[78:79], v30, v30                         // 00000000BC10: D048004E 00023D1E
	v_bfe_u32 v248, v30, 16, 1                                 // 00000000BC18: D1C800F8 0205211E
	v_add3_u32 v248, v30, v248, v251                           // 00000000BC20: D1FF00F8 07EFF11E
	v_cndmask_b32_e64 v28, v248, v250, s[78:79]                // 00000000BC28: D100001C 013BF5F8
	v_lshrrev_b32_e32 v28, 16, v28                             // 00000000BC30: 20383890
	v_cmp_u_f32_e64 s[78:79], v31, v31                         // 00000000BC34: D048004E 00023F1F
	v_bfe_u32 v248, v31, 16, 1                                 // 00000000BC3C: D1C800F8 0205211F
	v_add3_u32 v248, v31, v248, v251                           // 00000000BC44: D1FF00F8 07EFF11F
	v_cndmask_b32_e64 v29, v248, v250, s[78:79]                // 00000000BC4C: D100001D 013BF5F8
	v_and_or_b32 v94, v29, v249, v28                           // 00000000BC54: D201005E 0473F31D
	v_accvgpr_read_b32 v30, a254                               // 00000000BC5C: D3D8401E 180001FE
	v_accvgpr_read_b32 v31, a255                               // 00000000BC64: D3D8401F 180001FF
	v_mul_f32_e32 v30, s47, v30                                // 00000000BC6C: 0A3C3C2F
	v_mul_f32_e32 v31, s47, v31                                // 00000000BC70: 0A3E3E2F
	v_cmp_u_f32_e64 s[78:79], v30, v30                         // 00000000BC74: D048004E 00023D1E
	v_bfe_u32 v248, v30, 16, 1                                 // 00000000BC7C: D1C800F8 0205211E
	v_add3_u32 v248, v30, v248, v251                           // 00000000BC84: D1FF00F8 07EFF11E
	v_cndmask_b32_e64 v28, v248, v250, s[78:79]                // 00000000BC8C: D100001C 013BF5F8
	v_lshrrev_b32_e32 v28, 16, v28                             // 00000000BC94: 20383890
	v_cmp_u_f32_e64 s[78:79], v31, v31                         // 00000000BC98: D048004E 00023F1F
	v_bfe_u32 v248, v31, 16, 1                                 // 00000000BCA0: D1C800F8 0205211F
	v_add3_u32 v248, v31, v248, v251                           // 00000000BCA8: D1FF00F8 07EFF11F
	v_cndmask_b32_e64 v29, v248, v250, s[78:79]                // 00000000BCB0: D100001D 013BF5F8
	v_and_or_b32 v95, v29, v249, v28                           // 00000000BCB8: D201005F 0473F31D
	ds_write_b64 v25, v[80:81] offset:33792                    // 00000000BCC0: D89A8400 00005019
	ds_write_b64 v25, v[82:83] offset:34320                    // 00000000BCC8: D89A8610 00005219
	ds_write_b64 v25, v[84:85] offset:34848                    // 00000000BCD0: D89A8820 00005419
	ds_write_b64 v25, v[86:87] offset:35376                    // 00000000BCD8: D89A8A30 00005619
	ds_write_b64 v25, v[88:89] offset:35904                    // 00000000BCE0: D89A8C40 00005819
	ds_write_b64 v25, v[90:91] offset:36432                    // 00000000BCE8: D89A8E50 00005A19
	ds_write_b64 v25, v[92:93] offset:36960                    // 00000000BCF0: D89A9060 00005C19
	ds_write_b64 v25, v[94:95] offset:37488                    // 00000000BCF8: D89A9270 00005E19
	s_waitcnt lgkmcnt(0)                                       // 00000000BD00: BF8CC07F
	s_barrier                                                  // 00000000BD04: BF8A0000
	ds_read_b64 v[80:81], v24 offset:33792                     // 00000000BD08: D8EC8400 50000018
	ds_read_b64 v[82:83], v24 offset:33920                     // 00000000BD10: D8EC8480 52000018
	ds_read_b64 v[84:85], v24 offset:33824                     // 00000000BD18: D8EC8420 54000018
	ds_read_b64 v[86:87], v24 offset:33952                     // 00000000BD20: D8EC84A0 56000018
	ds_read_b64 v[88:89], v24 offset:33856                     // 00000000BD28: D8EC8440 58000018
	ds_read_b64 v[90:91], v24 offset:33984                     // 00000000BD30: D8EC84C0 5A000018
	ds_read_b64 v[92:93], v24 offset:33888                     // 00000000BD38: D8EC8460 5C000018
	ds_read_b64 v[94:95], v24 offset:34016                     // 00000000BD40: D8EC84E0 5E000018
	s_waitcnt lgkmcnt(0)                                       // 00000000BD48: BF8CC07F
	s_mov_b32 s70, s52                                         // 00000000BD4C: BEC60034
	s_mov_b64 exec, s[92:93]                                   // 00000000BD50: BEFE015C
	buffer_store_dwordx4 v[80:83], v5, s[36:39], 0 idxen       // 00000000BD54: E07C2000 80095005
	s_mov_b32 exec_lo, -1                                      // 00000000BD5C: BEFE00C1
	s_mov_b32 exec_hi, -1                                      // 00000000BD60: BEFF00C1
	v_add_u32_e32 v5, s70, v5                                  // 00000000BD64: 680A0A46
	s_mov_b64 exec, s[92:93]                                   // 00000000BD68: BEFE015C
	buffer_store_dwordx4 v[84:87], v5, s[36:39], 0 idxen       // 00000000BD6C: E07C2000 80095405
	s_mov_b32 exec_lo, -1                                      // 00000000BD74: BEFE00C1
	s_mov_b32 exec_hi, -1                                      // 00000000BD78: BEFF00C1
	v_add_u32_e32 v5, s70, v5                                  // 00000000BD7C: 680A0A46
	s_mov_b64 exec, s[92:93]                                   // 00000000BD80: BEFE015C
	buffer_store_dwordx4 v[88:91], v5, s[36:39], 0 idxen       // 00000000BD84: E07C2000 80095805
	s_mov_b32 exec_lo, -1                                      // 00000000BD8C: BEFE00C1
	s_mov_b32 exec_hi, -1                                      // 00000000BD90: BEFF00C1
	v_add_u32_e32 v5, s70, v5                                  // 00000000BD94: 680A0A46
	s_mov_b64 exec, s[92:93]                                   // 00000000BD98: BEFE015C
	buffer_store_dwordx4 v[92:95], v5, s[36:39], 0 idxen       // 00000000BD9C: E07C2000 80095C05
	s_mov_b32 exec_lo, -1                                      // 00000000BDA4: BEFE00C1
	s_mov_b32 exec_hi, -1                                      // 00000000BDA8: BEFF00C1
	v_add_u32_e32 v5, s70, v5                                  // 00000000BDAC: 680A0A46
	s_mul_i32 s60, 12, s70                                     // 00000000BDB0: 923C468C
	v_add_u32_e32 v5, s60, v5                                  // 00000000BDB4: 680A0A3C
	s_barrier                                                  // 00000000BDB8: BF8A0000
	s_cmp_ge_i32 3, s72                                        // 00000000BDBC: BF034883
	s_cbranch_scc1 label_2005                                  // 00000000BDC0: BF850000

000000000000bdc4 <label_2005>:
	v_mov_b32_e32 v30, v152                                    // 00000000BDC4: 7E3C0398
	v_mov_b32_e32 v31, v153                                    // 00000000BDC8: 7E3E0399
	v_cmp_u_f32_e64 s[78:79], v30, v30                         // 00000000BDCC: D048004E 00023D1E
	v_bfe_u32 v248, v30, 16, 1                                 // 00000000BDD4: D1C800F8 0205211E
	v_add3_u32 v248, v30, v248, v251                           // 00000000BDDC: D1FF00F8 07EFF11E
	v_cndmask_b32_e64 v28, v248, v250, s[78:79]                // 00000000BDE4: D100001C 013BF5F8
	v_lshrrev_b32_e32 v28, 16, v28                             // 00000000BDEC: 20383890
	v_cmp_u_f32_e64 s[78:79], v31, v31                         // 00000000BDF0: D048004E 00023F1F
	v_bfe_u32 v248, v31, 16, 1                                 // 00000000BDF8: D1C800F8 0205211F
	v_add3_u32 v248, v31, v248, v251                           // 00000000BE00: D1FF00F8 07EFF11F
	v_cndmask_b32_e64 v29, v248, v250, s[78:79]                // 00000000BE08: D100001D 013BF5F8
	v_and_or_b32 v152, v29, v249, v28                          // 00000000BE10: D2010098 0473F31D
	v_mov_b32_e32 v30, v154                                    // 00000000BE18: 7E3C039A
	v_mov_b32_e32 v31, v155                                    // 00000000BE1C: 7E3E039B
	v_cmp_u_f32_e64 s[78:79], v30, v30                         // 00000000BE20: D048004E 00023D1E
	v_bfe_u32 v248, v30, 16, 1                                 // 00000000BE28: D1C800F8 0205211E
	v_add3_u32 v248, v30, v248, v251                           // 00000000BE30: D1FF00F8 07EFF11E
	v_cndmask_b32_e64 v28, v248, v250, s[78:79]                // 00000000BE38: D100001C 013BF5F8
	v_lshrrev_b32_e32 v28, 16, v28                             // 00000000BE40: 20383890
	v_cmp_u_f32_e64 s[78:79], v31, v31                         // 00000000BE44: D048004E 00023F1F
	v_bfe_u32 v248, v31, 16, 1                                 // 00000000BE4C: D1C800F8 0205211F
	v_add3_u32 v248, v31, v248, v251                           // 00000000BE54: D1FF00F8 07EFF11F
	v_cndmask_b32_e64 v29, v248, v250, s[78:79]                // 00000000BE5C: D100001D 013BF5F8
	v_and_or_b32 v153, v29, v249, v28                          // 00000000BE64: D2010099 0473F31D
	v_mov_b32_e32 v30, v156                                    // 00000000BE6C: 7E3C039C
	v_mov_b32_e32 v31, v157                                    // 00000000BE70: 7E3E039D
	v_cmp_u_f32_e64 s[78:79], v30, v30                         // 00000000BE74: D048004E 00023D1E
	v_bfe_u32 v248, v30, 16, 1                                 // 00000000BE7C: D1C800F8 0205211E
	v_add3_u32 v248, v30, v248, v251                           // 00000000BE84: D1FF00F8 07EFF11E
	v_cndmask_b32_e64 v28, v248, v250, s[78:79]                // 00000000BE8C: D100001C 013BF5F8
	v_lshrrev_b32_e32 v28, 16, v28                             // 00000000BE94: 20383890
	v_cmp_u_f32_e64 s[78:79], v31, v31                         // 00000000BE98: D048004E 00023F1F
	v_bfe_u32 v248, v31, 16, 1                                 // 00000000BEA0: D1C800F8 0205211F
	v_add3_u32 v248, v31, v248, v251                           // 00000000BEA8: D1FF00F8 07EFF11F
	v_cndmask_b32_e64 v29, v248, v250, s[78:79]                // 00000000BEB0: D100001D 013BF5F8
	v_and_or_b32 v154, v29, v249, v28                          // 00000000BEB8: D201009A 0473F31D
	v_mov_b32_e32 v30, v158                                    // 00000000BEC0: 7E3C039E
	v_mov_b32_e32 v31, v159                                    // 00000000BEC4: 7E3E039F
	v_cmp_u_f32_e64 s[78:79], v30, v30                         // 00000000BEC8: D048004E 00023D1E
	v_bfe_u32 v248, v30, 16, 1                                 // 00000000BED0: D1C800F8 0205211E
	v_add3_u32 v248, v30, v248, v251                           // 00000000BED8: D1FF00F8 07EFF11E
	v_cndmask_b32_e64 v28, v248, v250, s[78:79]                // 00000000BEE0: D100001C 013BF5F8
	v_lshrrev_b32_e32 v28, 16, v28                             // 00000000BEE8: 20383890
	v_cmp_u_f32_e64 s[78:79], v31, v31                         // 00000000BEEC: D048004E 00023F1F
	v_bfe_u32 v248, v31, 16, 1                                 // 00000000BEF4: D1C800F8 0205211F
	v_add3_u32 v248, v31, v248, v251                           // 00000000BEFC: D1FF00F8 07EFF11F
	v_cndmask_b32_e64 v29, v248, v250, s[78:79]                // 00000000BF04: D100001D 013BF5F8
	v_and_or_b32 v155, v29, v249, v28                          // 00000000BF0C: D201009B 0473F31D
	v_mov_b32_e32 v30, v160                                    // 00000000BF14: 7E3C03A0
	v_mov_b32_e32 v31, v161                                    // 00000000BF18: 7E3E03A1
	v_cmp_u_f32_e64 s[78:79], v30, v30                         // 00000000BF1C: D048004E 00023D1E
	v_bfe_u32 v248, v30, 16, 1                                 // 00000000BF24: D1C800F8 0205211E
	v_add3_u32 v248, v30, v248, v251                           // 00000000BF2C: D1FF00F8 07EFF11E
	v_cndmask_b32_e64 v28, v248, v250, s[78:79]                // 00000000BF34: D100001C 013BF5F8
	v_lshrrev_b32_e32 v28, 16, v28                             // 00000000BF3C: 20383890
	v_cmp_u_f32_e64 s[78:79], v31, v31                         // 00000000BF40: D048004E 00023F1F
	v_bfe_u32 v248, v31, 16, 1                                 // 00000000BF48: D1C800F8 0205211F
	v_add3_u32 v248, v31, v248, v251                           // 00000000BF50: D1FF00F8 07EFF11F
	v_cndmask_b32_e64 v29, v248, v250, s[78:79]                // 00000000BF58: D100001D 013BF5F8
	v_and_or_b32 v156, v29, v249, v28                          // 00000000BF60: D201009C 0473F31D
	v_mov_b32_e32 v30, v162                                    // 00000000BF68: 7E3C03A2
	v_mov_b32_e32 v31, v163                                    // 00000000BF6C: 7E3E03A3
	v_cmp_u_f32_e64 s[78:79], v30, v30                         // 00000000BF70: D048004E 00023D1E
	v_bfe_u32 v248, v30, 16, 1                                 // 00000000BF78: D1C800F8 0205211E
	v_add3_u32 v248, v30, v248, v251                           // 00000000BF80: D1FF00F8 07EFF11E
	v_cndmask_b32_e64 v28, v248, v250, s[78:79]                // 00000000BF88: D100001C 013BF5F8
	v_lshrrev_b32_e32 v28, 16, v28                             // 00000000BF90: 20383890
	v_cmp_u_f32_e64 s[78:79], v31, v31                         // 00000000BF94: D048004E 00023F1F
	v_bfe_u32 v248, v31, 16, 1                                 // 00000000BF9C: D1C800F8 0205211F
	v_add3_u32 v248, v31, v248, v251                           // 00000000BFA4: D1FF00F8 07EFF11F
	v_cndmask_b32_e64 v29, v248, v250, s[78:79]                // 00000000BFAC: D100001D 013BF5F8
	v_and_or_b32 v157, v29, v249, v28                          // 00000000BFB4: D201009D 0473F31D
	v_mov_b32_e32 v30, v164                                    // 00000000BFBC: 7E3C03A4
	v_mov_b32_e32 v31, v165                                    // 00000000BFC0: 7E3E03A5
	v_cmp_u_f32_e64 s[78:79], v30, v30                         // 00000000BFC4: D048004E 00023D1E
	v_bfe_u32 v248, v30, 16, 1                                 // 00000000BFCC: D1C800F8 0205211E
	v_add3_u32 v248, v30, v248, v251                           // 00000000BFD4: D1FF00F8 07EFF11E
	v_cndmask_b32_e64 v28, v248, v250, s[78:79]                // 00000000BFDC: D100001C 013BF5F8
	v_lshrrev_b32_e32 v28, 16, v28                             // 00000000BFE4: 20383890
	v_cmp_u_f32_e64 s[78:79], v31, v31                         // 00000000BFE8: D048004E 00023F1F
	v_bfe_u32 v248, v31, 16, 1                                 // 00000000BFF0: D1C800F8 0205211F
	v_add3_u32 v248, v31, v248, v251                           // 00000000BFF8: D1FF00F8 07EFF11F
	v_cndmask_b32_e64 v29, v248, v250, s[78:79]                // 00000000C000: D100001D 013BF5F8
	v_and_or_b32 v158, v29, v249, v28                          // 00000000C008: D201009E 0473F31D
	v_mov_b32_e32 v30, v166                                    // 00000000C010: 7E3C03A6
	v_mov_b32_e32 v31, v167                                    // 00000000C014: 7E3E03A7
	v_cmp_u_f32_e64 s[78:79], v30, v30                         // 00000000C018: D048004E 00023D1E
	v_bfe_u32 v248, v30, 16, 1                                 // 00000000C020: D1C800F8 0205211E
	v_add3_u32 v248, v30, v248, v251                           // 00000000C028: D1FF00F8 07EFF11E
	v_cndmask_b32_e64 v28, v248, v250, s[78:79]                // 00000000C030: D100001C 013BF5F8
	v_lshrrev_b32_e32 v28, 16, v28                             // 00000000C038: 20383890
	v_cmp_u_f32_e64 s[78:79], v31, v31                         // 00000000C03C: D048004E 00023F1F
	v_bfe_u32 v248, v31, 16, 1                                 // 00000000C044: D1C800F8 0205211F
	v_add3_u32 v248, v31, v248, v251                           // 00000000C04C: D1FF00F8 07EFF11F
	v_cndmask_b32_e64 v29, v248, v250, s[78:79]                // 00000000C054: D100001D 013BF5F8
	v_and_or_b32 v159, v29, v249, v28                          // 00000000C05C: D201009F 0473F31D
	v_mov_b32_e32 v30, v168                                    // 00000000C064: 7E3C03A8
	v_mov_b32_e32 v31, v169                                    // 00000000C068: 7E3E03A9
	v_cmp_u_f32_e64 s[78:79], v30, v30                         // 00000000C06C: D048004E 00023D1E
	v_bfe_u32 v248, v30, 16, 1                                 // 00000000C074: D1C800F8 0205211E
	v_add3_u32 v248, v30, v248, v251                           // 00000000C07C: D1FF00F8 07EFF11E
	v_cndmask_b32_e64 v28, v248, v250, s[78:79]                // 00000000C084: D100001C 013BF5F8
	v_lshrrev_b32_e32 v28, 16, v28                             // 00000000C08C: 20383890
	v_cmp_u_f32_e64 s[78:79], v31, v31                         // 00000000C090: D048004E 00023F1F
	v_bfe_u32 v248, v31, 16, 1                                 // 00000000C098: D1C800F8 0205211F
	v_add3_u32 v248, v31, v248, v251                           // 00000000C0A0: D1FF00F8 07EFF11F
	v_cndmask_b32_e64 v29, v248, v250, s[78:79]                // 00000000C0A8: D100001D 013BF5F8
	v_and_or_b32 v160, v29, v249, v28                          // 00000000C0B0: D20100A0 0473F31D
	v_mov_b32_e32 v30, v170                                    // 00000000C0B8: 7E3C03AA
	v_mov_b32_e32 v31, v171                                    // 00000000C0BC: 7E3E03AB
	v_cmp_u_f32_e64 s[78:79], v30, v30                         // 00000000C0C0: D048004E 00023D1E
	v_bfe_u32 v248, v30, 16, 1                                 // 00000000C0C8: D1C800F8 0205211E
	v_add3_u32 v248, v30, v248, v251                           // 00000000C0D0: D1FF00F8 07EFF11E
	v_cndmask_b32_e64 v28, v248, v250, s[78:79]                // 00000000C0D8: D100001C 013BF5F8
	v_lshrrev_b32_e32 v28, 16, v28                             // 00000000C0E0: 20383890
	v_cmp_u_f32_e64 s[78:79], v31, v31                         // 00000000C0E4: D048004E 00023F1F
	v_bfe_u32 v248, v31, 16, 1                                 // 00000000C0EC: D1C800F8 0205211F
	v_add3_u32 v248, v31, v248, v251                           // 00000000C0F4: D1FF00F8 07EFF11F
	v_cndmask_b32_e64 v29, v248, v250, s[78:79]                // 00000000C0FC: D100001D 013BF5F8
	v_and_or_b32 v161, v29, v249, v28                          // 00000000C104: D20100A1 0473F31D
	v_mov_b32_e32 v30, v172                                    // 00000000C10C: 7E3C03AC
	v_mov_b32_e32 v31, v173                                    // 00000000C110: 7E3E03AD
	v_cmp_u_f32_e64 s[78:79], v30, v30                         // 00000000C114: D048004E 00023D1E
	v_bfe_u32 v248, v30, 16, 1                                 // 00000000C11C: D1C800F8 0205211E
	v_add3_u32 v248, v30, v248, v251                           // 00000000C124: D1FF00F8 07EFF11E
	v_cndmask_b32_e64 v28, v248, v250, s[78:79]                // 00000000C12C: D100001C 013BF5F8
	v_lshrrev_b32_e32 v28, 16, v28                             // 00000000C134: 20383890
	v_cmp_u_f32_e64 s[78:79], v31, v31                         // 00000000C138: D048004E 00023F1F
	v_bfe_u32 v248, v31, 16, 1                                 // 00000000C140: D1C800F8 0205211F
	v_add3_u32 v248, v31, v248, v251                           // 00000000C148: D1FF00F8 07EFF11F
	v_cndmask_b32_e64 v29, v248, v250, s[78:79]                // 00000000C150: D100001D 013BF5F8
	v_and_or_b32 v162, v29, v249, v28                          // 00000000C158: D20100A2 0473F31D
	v_mov_b32_e32 v30, v174                                    // 00000000C160: 7E3C03AE
	v_mov_b32_e32 v31, v175                                    // 00000000C164: 7E3E03AF
	v_cmp_u_f32_e64 s[78:79], v30, v30                         // 00000000C168: D048004E 00023D1E
	v_bfe_u32 v248, v30, 16, 1                                 // 00000000C170: D1C800F8 0205211E
	v_add3_u32 v248, v30, v248, v251                           // 00000000C178: D1FF00F8 07EFF11E
	v_cndmask_b32_e64 v28, v248, v250, s[78:79]                // 00000000C180: D100001C 013BF5F8
	v_lshrrev_b32_e32 v28, 16, v28                             // 00000000C188: 20383890
	v_cmp_u_f32_e64 s[78:79], v31, v31                         // 00000000C18C: D048004E 00023F1F
	v_bfe_u32 v248, v31, 16, 1                                 // 00000000C194: D1C800F8 0205211F
	v_add3_u32 v248, v31, v248, v251                           // 00000000C19C: D1FF00F8 07EFF11F
	v_cndmask_b32_e64 v29, v248, v250, s[78:79]                // 00000000C1A4: D100001D 013BF5F8
	v_and_or_b32 v163, v29, v249, v28                          // 00000000C1AC: D20100A3 0473F31D
	v_mov_b32_e32 v30, v176                                    // 00000000C1B4: 7E3C03B0
	v_mov_b32_e32 v31, v177                                    // 00000000C1B8: 7E3E03B1
	v_cmp_u_f32_e64 s[78:79], v30, v30                         // 00000000C1BC: D048004E 00023D1E
	v_bfe_u32 v248, v30, 16, 1                                 // 00000000C1C4: D1C800F8 0205211E
	v_add3_u32 v248, v30, v248, v251                           // 00000000C1CC: D1FF00F8 07EFF11E
	v_cndmask_b32_e64 v28, v248, v250, s[78:79]                // 00000000C1D4: D100001C 013BF5F8
	v_lshrrev_b32_e32 v28, 16, v28                             // 00000000C1DC: 20383890
	v_cmp_u_f32_e64 s[78:79], v31, v31                         // 00000000C1E0: D048004E 00023F1F
	v_bfe_u32 v248, v31, 16, 1                                 // 00000000C1E8: D1C800F8 0205211F
	v_add3_u32 v248, v31, v248, v251                           // 00000000C1F0: D1FF00F8 07EFF11F
	v_cndmask_b32_e64 v29, v248, v250, s[78:79]                // 00000000C1F8: D100001D 013BF5F8
	v_and_or_b32 v164, v29, v249, v28                          // 00000000C200: D20100A4 0473F31D
	v_mov_b32_e32 v30, v178                                    // 00000000C208: 7E3C03B2
	v_mov_b32_e32 v31, v179                                    // 00000000C20C: 7E3E03B3
	v_cmp_u_f32_e64 s[78:79], v30, v30                         // 00000000C210: D048004E 00023D1E
	v_bfe_u32 v248, v30, 16, 1                                 // 00000000C218: D1C800F8 0205211E
	v_add3_u32 v248, v30, v248, v251                           // 00000000C220: D1FF00F8 07EFF11E
	v_cndmask_b32_e64 v28, v248, v250, s[78:79]                // 00000000C228: D100001C 013BF5F8
	v_lshrrev_b32_e32 v28, 16, v28                             // 00000000C230: 20383890
	v_cmp_u_f32_e64 s[78:79], v31, v31                         // 00000000C234: D048004E 00023F1F
	v_bfe_u32 v248, v31, 16, 1                                 // 00000000C23C: D1C800F8 0205211F
	v_add3_u32 v248, v31, v248, v251                           // 00000000C244: D1FF00F8 07EFF11F
	v_cndmask_b32_e64 v29, v248, v250, s[78:79]                // 00000000C24C: D100001D 013BF5F8
	v_and_or_b32 v165, v29, v249, v28                          // 00000000C254: D20100A5 0473F31D
	v_mov_b32_e32 v30, v180                                    // 00000000C25C: 7E3C03B4
	v_mov_b32_e32 v31, v181                                    // 00000000C260: 7E3E03B5
	v_cmp_u_f32_e64 s[78:79], v30, v30                         // 00000000C264: D048004E 00023D1E
	v_bfe_u32 v248, v30, 16, 1                                 // 00000000C26C: D1C800F8 0205211E
	v_add3_u32 v248, v30, v248, v251                           // 00000000C274: D1FF00F8 07EFF11E
	v_cndmask_b32_e64 v28, v248, v250, s[78:79]                // 00000000C27C: D100001C 013BF5F8
	v_lshrrev_b32_e32 v28, 16, v28                             // 00000000C284: 20383890
	v_cmp_u_f32_e64 s[78:79], v31, v31                         // 00000000C288: D048004E 00023F1F
	v_bfe_u32 v248, v31, 16, 1                                 // 00000000C290: D1C800F8 0205211F
	v_add3_u32 v248, v31, v248, v251                           // 00000000C298: D1FF00F8 07EFF11F
	v_cndmask_b32_e64 v29, v248, v250, s[78:79]                // 00000000C2A0: D100001D 013BF5F8
	v_and_or_b32 v166, v29, v249, v28                          // 00000000C2A8: D20100A6 0473F31D
	v_mov_b32_e32 v30, v182                                    // 00000000C2B0: 7E3C03B6
	v_mov_b32_e32 v31, v183                                    // 00000000C2B4: 7E3E03B7
	v_cmp_u_f32_e64 s[78:79], v30, v30                         // 00000000C2B8: D048004E 00023D1E
	v_bfe_u32 v248, v30, 16, 1                                 // 00000000C2C0: D1C800F8 0205211E
	v_add3_u32 v248, v30, v248, v251                           // 00000000C2C8: D1FF00F8 07EFF11E
	v_cndmask_b32_e64 v28, v248, v250, s[78:79]                // 00000000C2D0: D100001C 013BF5F8
	v_lshrrev_b32_e32 v28, 16, v28                             // 00000000C2D8: 20383890
	v_cmp_u_f32_e64 s[78:79], v31, v31                         // 00000000C2DC: D048004E 00023F1F
	v_bfe_u32 v248, v31, 16, 1                                 // 00000000C2E4: D1C800F8 0205211F
	v_add3_u32 v248, v31, v248, v251                           // 00000000C2EC: D1FF00F8 07EFF11F
	v_cndmask_b32_e64 v29, v248, v250, s[78:79]                // 00000000C2F4: D100001D 013BF5F8
	v_and_or_b32 v167, v29, v249, v28                          // 00000000C2FC: D20100A7 0473F31D
	ds_write_b64 v25, v[152:153]                               // 00000000C304: D89A0000 00009819
	ds_write_b64 v25, v[154:155] offset:528                    // 00000000C30C: D89A0210 00009A19
	ds_write_b64 v25, v[156:157] offset:1056                   // 00000000C314: D89A0420 00009C19
	ds_write_b64 v25, v[158:159] offset:1584                   // 00000000C31C: D89A0630 00009E19
	ds_write_b64 v25, v[160:161] offset:2112                   // 00000000C324: D89A0840 0000A019
	ds_write_b64 v25, v[162:163] offset:2640                   // 00000000C32C: D89A0A50 0000A219
	ds_write_b64 v25, v[164:165] offset:3168                   // 00000000C334: D89A0C60 0000A419
	ds_write_b64 v25, v[166:167] offset:3696                   // 00000000C33C: D89A0E70 0000A619
	s_waitcnt lgkmcnt(0)                                       // 00000000C344: BF8CC07F
	s_barrier                                                  // 00000000C348: BF8A0000
	ds_read_b64 v[152:153], v24                                // 00000000C34C: D8EC0000 98000018
	ds_read_b64 v[154:155], v24 offset:128                     // 00000000C354: D8EC0080 9A000018
	ds_read_b64 v[156:157], v24 offset:32                      // 00000000C35C: D8EC0020 9C000018
	ds_read_b64 v[158:159], v24 offset:160                     // 00000000C364: D8EC00A0 9E000018
	ds_read_b64 v[160:161], v24 offset:64                      // 00000000C36C: D8EC0040 A0000018
	ds_read_b64 v[162:163], v24 offset:192                     // 00000000C374: D8EC00C0 A2000018
	ds_read_b64 v[164:165], v24 offset:96                      // 00000000C37C: D8EC0060 A4000018
	ds_read_b64 v[166:167], v24 offset:224                     // 00000000C384: D8EC00E0 A6000018
	s_waitcnt lgkmcnt(0)                                       // 00000000C38C: BF8CC07F
	s_mov_b32 s70, s53                                         // 00000000C390: BEC60035
	s_mov_b64 exec, s[92:93]                                   // 00000000C394: BEFE015C
	buffer_store_dwordx4 v[152:155], v6, s[40:43], 0 idxen     // 00000000C398: E07C2000 800A9806
	s_mov_b32 exec_lo, -1                                      // 00000000C3A0: BEFE00C1
	s_mov_b32 exec_hi, -1                                      // 00000000C3A4: BEFF00C1
	v_add_u32_e32 v6, s70, v6                                  // 00000000C3A8: 680C0C46
	s_mov_b64 exec, s[92:93]                                   // 00000000C3AC: BEFE015C
	buffer_store_dwordx4 v[156:159], v6, s[40:43], 0 idxen     // 00000000C3B0: E07C2000 800A9C06
	s_mov_b32 exec_lo, -1                                      // 00000000C3B8: BEFE00C1
	s_mov_b32 exec_hi, -1                                      // 00000000C3BC: BEFF00C1
	v_add_u32_e32 v6, s70, v6                                  // 00000000C3C0: 680C0C46
	s_mov_b64 exec, s[92:93]                                   // 00000000C3C4: BEFE015C
	buffer_store_dwordx4 v[160:163], v6, s[40:43], 0 idxen     // 00000000C3C8: E07C2000 800AA006
	s_mov_b32 exec_lo, -1                                      // 00000000C3D0: BEFE00C1
	s_mov_b32 exec_hi, -1                                      // 00000000C3D4: BEFF00C1
	v_add_u32_e32 v6, s70, v6                                  // 00000000C3D8: 680C0C46
	s_mov_b64 exec, s[92:93]                                   // 00000000C3DC: BEFE015C
	buffer_store_dwordx4 v[164:167], v6, s[40:43], 0 idxen     // 00000000C3E0: E07C2000 800AA406
	s_mov_b32 exec_lo, -1                                      // 00000000C3E8: BEFE00C1
	s_mov_b32 exec_hi, -1                                      // 00000000C3EC: BEFF00C1
	v_add_u32_e32 v6, s70, v6                                  // 00000000C3F0: 680C0C46
	s_mul_i32 s60, 12, s70                                     // 00000000C3F4: 923C468C
	v_add_u32_e32 v6, s60, v6                                  // 00000000C3F8: 680C0C3C
	s_cmp_ge_i32 1, s72                                        // 00000000C3FC: BF034881
	s_cbranch_scc1 label_24B5                                  // 00000000C400: BF850320
	v_mov_b32_e32 v30, v184                                    // 00000000C404: 7E3C03B8
	v_mov_b32_e32 v31, v185                                    // 00000000C408: 7E3E03B9
	v_cmp_u_f32_e64 s[78:79], v30, v30                         // 00000000C40C: D048004E 00023D1E
	v_bfe_u32 v248, v30, 16, 1                                 // 00000000C414: D1C800F8 0205211E
	v_add3_u32 v248, v30, v248, v251                           // 00000000C41C: D1FF00F8 07EFF11E
	v_cndmask_b32_e64 v28, v248, v250, s[78:79]                // 00000000C424: D100001C 013BF5F8
	v_lshrrev_b32_e32 v28, 16, v28                             // 00000000C42C: 20383890
	v_cmp_u_f32_e64 s[78:79], v31, v31                         // 00000000C430: D048004E 00023F1F
	v_bfe_u32 v248, v31, 16, 1                                 // 00000000C438: D1C800F8 0205211F
	v_add3_u32 v248, v31, v248, v251                           // 00000000C440: D1FF00F8 07EFF11F
	v_cndmask_b32_e64 v29, v248, v250, s[78:79]                // 00000000C448: D100001D 013BF5F8
	v_and_or_b32 v168, v29, v249, v28                          // 00000000C450: D20100A8 0473F31D
	v_mov_b32_e32 v30, v186                                    // 00000000C458: 7E3C03BA
	v_mov_b32_e32 v31, v187                                    // 00000000C45C: 7E3E03BB
	v_cmp_u_f32_e64 s[78:79], v30, v30                         // 00000000C460: D048004E 00023D1E
	v_bfe_u32 v248, v30, 16, 1                                 // 00000000C468: D1C800F8 0205211E
	v_add3_u32 v248, v30, v248, v251                           // 00000000C470: D1FF00F8 07EFF11E
	v_cndmask_b32_e64 v28, v248, v250, s[78:79]                // 00000000C478: D100001C 013BF5F8
	v_lshrrev_b32_e32 v28, 16, v28                             // 00000000C480: 20383890
	v_cmp_u_f32_e64 s[78:79], v31, v31                         // 00000000C484: D048004E 00023F1F
	v_bfe_u32 v248, v31, 16, 1                                 // 00000000C48C: D1C800F8 0205211F
	v_add3_u32 v248, v31, v248, v251                           // 00000000C494: D1FF00F8 07EFF11F
	v_cndmask_b32_e64 v29, v248, v250, s[78:79]                // 00000000C49C: D100001D 013BF5F8
	v_and_or_b32 v169, v29, v249, v28                          // 00000000C4A4: D20100A9 0473F31D
	v_mov_b32_e32 v30, v188                                    // 00000000C4AC: 7E3C03BC
	v_mov_b32_e32 v31, v189                                    // 00000000C4B0: 7E3E03BD
	v_cmp_u_f32_e64 s[78:79], v30, v30                         // 00000000C4B4: D048004E 00023D1E
	v_bfe_u32 v248, v30, 16, 1                                 // 00000000C4BC: D1C800F8 0205211E
	v_add3_u32 v248, v30, v248, v251                           // 00000000C4C4: D1FF00F8 07EFF11E
	v_cndmask_b32_e64 v28, v248, v250, s[78:79]                // 00000000C4CC: D100001C 013BF5F8
	v_lshrrev_b32_e32 v28, 16, v28                             // 00000000C4D4: 20383890
	v_cmp_u_f32_e64 s[78:79], v31, v31                         // 00000000C4D8: D048004E 00023F1F
	v_bfe_u32 v248, v31, 16, 1                                 // 00000000C4E0: D1C800F8 0205211F
	v_add3_u32 v248, v31, v248, v251                           // 00000000C4E8: D1FF00F8 07EFF11F
	v_cndmask_b32_e64 v29, v248, v250, s[78:79]                // 00000000C4F0: D100001D 013BF5F8
	v_and_or_b32 v170, v29, v249, v28                          // 00000000C4F8: D20100AA 0473F31D
	v_mov_b32_e32 v30, v190                                    // 00000000C500: 7E3C03BE
	v_mov_b32_e32 v31, v191                                    // 00000000C504: 7E3E03BF
	v_cmp_u_f32_e64 s[78:79], v30, v30                         // 00000000C508: D048004E 00023D1E
	v_bfe_u32 v248, v30, 16, 1                                 // 00000000C510: D1C800F8 0205211E
	v_add3_u32 v248, v30, v248, v251                           // 00000000C518: D1FF00F8 07EFF11E
	v_cndmask_b32_e64 v28, v248, v250, s[78:79]                // 00000000C520: D100001C 013BF5F8
	v_lshrrev_b32_e32 v28, 16, v28                             // 00000000C528: 20383890
	v_cmp_u_f32_e64 s[78:79], v31, v31                         // 00000000C52C: D048004E 00023F1F
	v_bfe_u32 v248, v31, 16, 1                                 // 00000000C534: D1C800F8 0205211F
	v_add3_u32 v248, v31, v248, v251                           // 00000000C53C: D1FF00F8 07EFF11F
	v_cndmask_b32_e64 v29, v248, v250, s[78:79]                // 00000000C544: D100001D 013BF5F8
	v_and_or_b32 v171, v29, v249, v28                          // 00000000C54C: D20100AB 0473F31D
	v_mov_b32_e32 v30, v192                                    // 00000000C554: 7E3C03C0
	v_mov_b32_e32 v31, v193                                    // 00000000C558: 7E3E03C1
	v_cmp_u_f32_e64 s[78:79], v30, v30                         // 00000000C55C: D048004E 00023D1E
	v_bfe_u32 v248, v30, 16, 1                                 // 00000000C564: D1C800F8 0205211E
	v_add3_u32 v248, v30, v248, v251                           // 00000000C56C: D1FF00F8 07EFF11E
	v_cndmask_b32_e64 v28, v248, v250, s[78:79]                // 00000000C574: D100001C 013BF5F8
	v_lshrrev_b32_e32 v28, 16, v28                             // 00000000C57C: 20383890
	v_cmp_u_f32_e64 s[78:79], v31, v31                         // 00000000C580: D048004E 00023F1F
	v_bfe_u32 v248, v31, 16, 1                                 // 00000000C588: D1C800F8 0205211F
	v_add3_u32 v248, v31, v248, v251                           // 00000000C590: D1FF00F8 07EFF11F
	v_cndmask_b32_e64 v29, v248, v250, s[78:79]                // 00000000C598: D100001D 013BF5F8
	v_and_or_b32 v172, v29, v249, v28                          // 00000000C5A0: D20100AC 0473F31D
	v_mov_b32_e32 v30, v194                                    // 00000000C5A8: 7E3C03C2
	v_mov_b32_e32 v31, v195                                    // 00000000C5AC: 7E3E03C3
	v_cmp_u_f32_e64 s[78:79], v30, v30                         // 00000000C5B0: D048004E 00023D1E
	v_bfe_u32 v248, v30, 16, 1                                 // 00000000C5B8: D1C800F8 0205211E
	v_add3_u32 v248, v30, v248, v251                           // 00000000C5C0: D1FF00F8 07EFF11E
	v_cndmask_b32_e64 v28, v248, v250, s[78:79]                // 00000000C5C8: D100001C 013BF5F8
	v_lshrrev_b32_e32 v28, 16, v28                             // 00000000C5D0: 20383890
	v_cmp_u_f32_e64 s[78:79], v31, v31                         // 00000000C5D4: D048004E 00023F1F
	v_bfe_u32 v248, v31, 16, 1                                 // 00000000C5DC: D1C800F8 0205211F
	v_add3_u32 v248, v31, v248, v251                           // 00000000C5E4: D1FF00F8 07EFF11F
	v_cndmask_b32_e64 v29, v248, v250, s[78:79]                // 00000000C5EC: D100001D 013BF5F8
	v_and_or_b32 v173, v29, v249, v28                          // 00000000C5F4: D20100AD 0473F31D
	v_mov_b32_e32 v30, v196                                    // 00000000C5FC: 7E3C03C4
	v_mov_b32_e32 v31, v197                                    // 00000000C600: 7E3E03C5
	v_cmp_u_f32_e64 s[78:79], v30, v30                         // 00000000C604: D048004E 00023D1E
	v_bfe_u32 v248, v30, 16, 1                                 // 00000000C60C: D1C800F8 0205211E
	v_add3_u32 v248, v30, v248, v251                           // 00000000C614: D1FF00F8 07EFF11E
	v_cndmask_b32_e64 v28, v248, v250, s[78:79]                // 00000000C61C: D100001C 013BF5F8
	v_lshrrev_b32_e32 v28, 16, v28                             // 00000000C624: 20383890
	v_cmp_u_f32_e64 s[78:79], v31, v31                         // 00000000C628: D048004E 00023F1F
	v_bfe_u32 v248, v31, 16, 1                                 // 00000000C630: D1C800F8 0205211F
	v_add3_u32 v248, v31, v248, v251                           // 00000000C638: D1FF00F8 07EFF11F
	v_cndmask_b32_e64 v29, v248, v250, s[78:79]                // 00000000C640: D100001D 013BF5F8
	v_and_or_b32 v174, v29, v249, v28                          // 00000000C648: D20100AE 0473F31D
	v_mov_b32_e32 v30, v198                                    // 00000000C650: 7E3C03C6
	v_mov_b32_e32 v31, v199                                    // 00000000C654: 7E3E03C7
	v_cmp_u_f32_e64 s[78:79], v30, v30                         // 00000000C658: D048004E 00023D1E
	v_bfe_u32 v248, v30, 16, 1                                 // 00000000C660: D1C800F8 0205211E
	v_add3_u32 v248, v30, v248, v251                           // 00000000C668: D1FF00F8 07EFF11E
	v_cndmask_b32_e64 v28, v248, v250, s[78:79]                // 00000000C670: D100001C 013BF5F8
	v_lshrrev_b32_e32 v28, 16, v28                             // 00000000C678: 20383890
	v_cmp_u_f32_e64 s[78:79], v31, v31                         // 00000000C67C: D048004E 00023F1F
	v_bfe_u32 v248, v31, 16, 1                                 // 00000000C684: D1C800F8 0205211F
	v_add3_u32 v248, v31, v248, v251                           // 00000000C68C: D1FF00F8 07EFF11F
	v_cndmask_b32_e64 v29, v248, v250, s[78:79]                // 00000000C694: D100001D 013BF5F8
	v_and_or_b32 v175, v29, v249, v28                          // 00000000C69C: D20100AF 0473F31D
	v_mov_b32_e32 v30, v200                                    // 00000000C6A4: 7E3C03C8
	v_mov_b32_e32 v31, v201                                    // 00000000C6A8: 7E3E03C9
	v_cmp_u_f32_e64 s[78:79], v30, v30                         // 00000000C6AC: D048004E 00023D1E
	v_bfe_u32 v248, v30, 16, 1                                 // 00000000C6B4: D1C800F8 0205211E
	v_add3_u32 v248, v30, v248, v251                           // 00000000C6BC: D1FF00F8 07EFF11E
	v_cndmask_b32_e64 v28, v248, v250, s[78:79]                // 00000000C6C4: D100001C 013BF5F8
	v_lshrrev_b32_e32 v28, 16, v28                             // 00000000C6CC: 20383890
	v_cmp_u_f32_e64 s[78:79], v31, v31                         // 00000000C6D0: D048004E 00023F1F
	v_bfe_u32 v248, v31, 16, 1                                 // 00000000C6D8: D1C800F8 0205211F
	v_add3_u32 v248, v31, v248, v251                           // 00000000C6E0: D1FF00F8 07EFF11F
	v_cndmask_b32_e64 v29, v248, v250, s[78:79]                // 00000000C6E8: D100001D 013BF5F8
	v_and_or_b32 v176, v29, v249, v28                          // 00000000C6F0: D20100B0 0473F31D
	v_mov_b32_e32 v30, v202                                    // 00000000C6F8: 7E3C03CA
	v_mov_b32_e32 v31, v203                                    // 00000000C6FC: 7E3E03CB
	v_cmp_u_f32_e64 s[78:79], v30, v30                         // 00000000C700: D048004E 00023D1E
	v_bfe_u32 v248, v30, 16, 1                                 // 00000000C708: D1C800F8 0205211E
	v_add3_u32 v248, v30, v248, v251                           // 00000000C710: D1FF00F8 07EFF11E
	v_cndmask_b32_e64 v28, v248, v250, s[78:79]                // 00000000C718: D100001C 013BF5F8
	v_lshrrev_b32_e32 v28, 16, v28                             // 00000000C720: 20383890
	v_cmp_u_f32_e64 s[78:79], v31, v31                         // 00000000C724: D048004E 00023F1F
	v_bfe_u32 v248, v31, 16, 1                                 // 00000000C72C: D1C800F8 0205211F
	v_add3_u32 v248, v31, v248, v251                           // 00000000C734: D1FF00F8 07EFF11F
	v_cndmask_b32_e64 v29, v248, v250, s[78:79]                // 00000000C73C: D100001D 013BF5F8
	v_and_or_b32 v177, v29, v249, v28                          // 00000000C744: D20100B1 0473F31D
	v_mov_b32_e32 v30, v204                                    // 00000000C74C: 7E3C03CC
	v_mov_b32_e32 v31, v205                                    // 00000000C750: 7E3E03CD
	v_cmp_u_f32_e64 s[78:79], v30, v30                         // 00000000C754: D048004E 00023D1E
	v_bfe_u32 v248, v30, 16, 1                                 // 00000000C75C: D1C800F8 0205211E
	v_add3_u32 v248, v30, v248, v251                           // 00000000C764: D1FF00F8 07EFF11E
	v_cndmask_b32_e64 v28, v248, v250, s[78:79]                // 00000000C76C: D100001C 013BF5F8
	v_lshrrev_b32_e32 v28, 16, v28                             // 00000000C774: 20383890
	v_cmp_u_f32_e64 s[78:79], v31, v31                         // 00000000C778: D048004E 00023F1F
	v_bfe_u32 v248, v31, 16, 1                                 // 00000000C780: D1C800F8 0205211F
	v_add3_u32 v248, v31, v248, v251                           // 00000000C788: D1FF00F8 07EFF11F
	v_cndmask_b32_e64 v29, v248, v250, s[78:79]                // 00000000C790: D100001D 013BF5F8
	v_and_or_b32 v178, v29, v249, v28                          // 00000000C798: D20100B2 0473F31D
	v_mov_b32_e32 v30, v206                                    // 00000000C7A0: 7E3C03CE
	v_mov_b32_e32 v31, v207                                    // 00000000C7A4: 7E3E03CF
	v_cmp_u_f32_e64 s[78:79], v30, v30                         // 00000000C7A8: D048004E 00023D1E
	v_bfe_u32 v248, v30, 16, 1                                 // 00000000C7B0: D1C800F8 0205211E
	v_add3_u32 v248, v30, v248, v251                           // 00000000C7B8: D1FF00F8 07EFF11E
	v_cndmask_b32_e64 v28, v248, v250, s[78:79]                // 00000000C7C0: D100001C 013BF5F8
	v_lshrrev_b32_e32 v28, 16, v28                             // 00000000C7C8: 20383890
	v_cmp_u_f32_e64 s[78:79], v31, v31                         // 00000000C7CC: D048004E 00023F1F
	v_bfe_u32 v248, v31, 16, 1                                 // 00000000C7D4: D1C800F8 0205211F
	v_add3_u32 v248, v31, v248, v251                           // 00000000C7DC: D1FF00F8 07EFF11F
	v_cndmask_b32_e64 v29, v248, v250, s[78:79]                // 00000000C7E4: D100001D 013BF5F8
	v_and_or_b32 v179, v29, v249, v28                          // 00000000C7EC: D20100B3 0473F31D
	v_mov_b32_e32 v30, v208                                    // 00000000C7F4: 7E3C03D0
	v_mov_b32_e32 v31, v209                                    // 00000000C7F8: 7E3E03D1
	v_cmp_u_f32_e64 s[78:79], v30, v30                         // 00000000C7FC: D048004E 00023D1E
	v_bfe_u32 v248, v30, 16, 1                                 // 00000000C804: D1C800F8 0205211E
	v_add3_u32 v248, v30, v248, v251                           // 00000000C80C: D1FF00F8 07EFF11E
	v_cndmask_b32_e64 v28, v248, v250, s[78:79]                // 00000000C814: D100001C 013BF5F8
	v_lshrrev_b32_e32 v28, 16, v28                             // 00000000C81C: 20383890
	v_cmp_u_f32_e64 s[78:79], v31, v31                         // 00000000C820: D048004E 00023F1F
	v_bfe_u32 v248, v31, 16, 1                                 // 00000000C828: D1C800F8 0205211F
	v_add3_u32 v248, v31, v248, v251                           // 00000000C830: D1FF00F8 07EFF11F
	v_cndmask_b32_e64 v29, v248, v250, s[78:79]                // 00000000C838: D100001D 013BF5F8
	v_and_or_b32 v180, v29, v249, v28                          // 00000000C840: D20100B4 0473F31D
	v_mov_b32_e32 v30, v210                                    // 00000000C848: 7E3C03D2
	v_mov_b32_e32 v31, v211                                    // 00000000C84C: 7E3E03D3
	v_cmp_u_f32_e64 s[78:79], v30, v30                         // 00000000C850: D048004E 00023D1E
	v_bfe_u32 v248, v30, 16, 1                                 // 00000000C858: D1C800F8 0205211E
	v_add3_u32 v248, v30, v248, v251                           // 00000000C860: D1FF00F8 07EFF11E
	v_cndmask_b32_e64 v28, v248, v250, s[78:79]                // 00000000C868: D100001C 013BF5F8
	v_lshrrev_b32_e32 v28, 16, v28                             // 00000000C870: 20383890
	v_cmp_u_f32_e64 s[78:79], v31, v31                         // 00000000C874: D048004E 00023F1F
	v_bfe_u32 v248, v31, 16, 1                                 // 00000000C87C: D1C800F8 0205211F
	v_add3_u32 v248, v31, v248, v251                           // 00000000C884: D1FF00F8 07EFF11F
	v_cndmask_b32_e64 v29, v248, v250, s[78:79]                // 00000000C88C: D100001D 013BF5F8
	v_and_or_b32 v181, v29, v249, v28                          // 00000000C894: D20100B5 0473F31D
	v_mov_b32_e32 v30, v212                                    // 00000000C89C: 7E3C03D4
	v_mov_b32_e32 v31, v213                                    // 00000000C8A0: 7E3E03D5
	v_cmp_u_f32_e64 s[78:79], v30, v30                         // 00000000C8A4: D048004E 00023D1E
	v_bfe_u32 v248, v30, 16, 1                                 // 00000000C8AC: D1C800F8 0205211E
	v_add3_u32 v248, v30, v248, v251                           // 00000000C8B4: D1FF00F8 07EFF11E
	v_cndmask_b32_e64 v28, v248, v250, s[78:79]                // 00000000C8BC: D100001C 013BF5F8
	v_lshrrev_b32_e32 v28, 16, v28                             // 00000000C8C4: 20383890
	v_cmp_u_f32_e64 s[78:79], v31, v31                         // 00000000C8C8: D048004E 00023F1F
	v_bfe_u32 v248, v31, 16, 1                                 // 00000000C8D0: D1C800F8 0205211F
	v_add3_u32 v248, v31, v248, v251                           // 00000000C8D8: D1FF00F8 07EFF11F
	v_cndmask_b32_e64 v29, v248, v250, s[78:79]                // 00000000C8E0: D100001D 013BF5F8
	v_and_or_b32 v182, v29, v249, v28                          // 00000000C8E8: D20100B6 0473F31D
	v_mov_b32_e32 v30, v214                                    // 00000000C8F0: 7E3C03D6
	v_mov_b32_e32 v31, v215                                    // 00000000C8F4: 7E3E03D7
	v_cmp_u_f32_e64 s[78:79], v30, v30                         // 00000000C8F8: D048004E 00023D1E
	v_bfe_u32 v248, v30, 16, 1                                 // 00000000C900: D1C800F8 0205211E
	v_add3_u32 v248, v30, v248, v251                           // 00000000C908: D1FF00F8 07EFF11E
	v_cndmask_b32_e64 v28, v248, v250, s[78:79]                // 00000000C910: D100001C 013BF5F8
	v_lshrrev_b32_e32 v28, 16, v28                             // 00000000C918: 20383890
	v_cmp_u_f32_e64 s[78:79], v31, v31                         // 00000000C91C: D048004E 00023F1F
	v_bfe_u32 v248, v31, 16, 1                                 // 00000000C924: D1C800F8 0205211F
	v_add3_u32 v248, v31, v248, v251                           // 00000000C92C: D1FF00F8 07EFF11F
	v_cndmask_b32_e64 v29, v248, v250, s[78:79]                // 00000000C934: D100001D 013BF5F8
	v_and_or_b32 v183, v29, v249, v28                          // 00000000C93C: D20100B7 0473F31D
	ds_write_b64 v25, v[168:169] offset:16896                  // 00000000C944: D89A4200 0000A819
	ds_write_b64 v25, v[170:171] offset:17424                  // 00000000C94C: D89A4410 0000AA19
	ds_write_b64 v25, v[172:173] offset:17952                  // 00000000C954: D89A4620 0000AC19
	ds_write_b64 v25, v[174:175] offset:18480                  // 00000000C95C: D89A4830 0000AE19
	ds_write_b64 v25, v[176:177] offset:19008                  // 00000000C964: D89A4A40 0000B019
	ds_write_b64 v25, v[178:179] offset:19536                  // 00000000C96C: D89A4C50 0000B219
	ds_write_b64 v25, v[180:181] offset:20064                  // 00000000C974: D89A4E60 0000B419
	ds_write_b64 v25, v[182:183] offset:20592                  // 00000000C97C: D89A5070 0000B619
	s_waitcnt lgkmcnt(0)                                       // 00000000C984: BF8CC07F
	s_barrier                                                  // 00000000C988: BF8A0000
	ds_read_b64 v[168:169], v24 offset:16896                   // 00000000C98C: D8EC4200 A8000018
	ds_read_b64 v[170:171], v24 offset:17024                   // 00000000C994: D8EC4280 AA000018
	ds_read_b64 v[172:173], v24 offset:16928                   // 00000000C99C: D8EC4220 AC000018
	ds_read_b64 v[174:175], v24 offset:17056                   // 00000000C9A4: D8EC42A0 AE000018
	ds_read_b64 v[176:177], v24 offset:16960                   // 00000000C9AC: D8EC4240 B0000018
	ds_read_b64 v[178:179], v24 offset:17088                   // 00000000C9B4: D8EC42C0 B2000018
	ds_read_b64 v[180:181], v24 offset:16992                   // 00000000C9BC: D8EC4260 B4000018
	ds_read_b64 v[182:183], v24 offset:17120                   // 00000000C9C4: D8EC42E0 B6000018
	s_waitcnt lgkmcnt(0)                                       // 00000000C9CC: BF8CC07F
	s_mov_b32 s70, s53                                         // 00000000C9D0: BEC60035
	s_mov_b64 exec, s[92:93]                                   // 00000000C9D4: BEFE015C
	buffer_store_dwordx4 v[168:171], v6, s[40:43], 0 idxen     // 00000000C9D8: E07C2000 800AA806
	s_mov_b32 exec_lo, -1                                      // 00000000C9E0: BEFE00C1
	s_mov_b32 exec_hi, -1                                      // 00000000C9E4: BEFF00C1
	v_add_u32_e32 v6, s70, v6                                  // 00000000C9E8: 680C0C46
	s_mov_b64 exec, s[92:93]                                   // 00000000C9EC: BEFE015C
	buffer_store_dwordx4 v[172:175], v6, s[40:43], 0 idxen     // 00000000C9F0: E07C2000 800AAC06
	s_mov_b32 exec_lo, -1                                      // 00000000C9F8: BEFE00C1
	s_mov_b32 exec_hi, -1                                      // 00000000C9FC: BEFF00C1
	v_add_u32_e32 v6, s70, v6                                  // 00000000CA00: 680C0C46
	s_mov_b64 exec, s[92:93]                                   // 00000000CA04: BEFE015C
	buffer_store_dwordx4 v[176:179], v6, s[40:43], 0 idxen     // 00000000CA08: E07C2000 800AB006
	s_mov_b32 exec_lo, -1                                      // 00000000CA10: BEFE00C1
	s_mov_b32 exec_hi, -1                                      // 00000000CA14: BEFF00C1
	v_add_u32_e32 v6, s70, v6                                  // 00000000CA18: 680C0C46
	s_mov_b64 exec, s[92:93]                                   // 00000000CA1C: BEFE015C
	buffer_store_dwordx4 v[180:183], v6, s[40:43], 0 idxen     // 00000000CA20: E07C2000 800AB406
	s_mov_b32 exec_lo, -1                                      // 00000000CA28: BEFE00C1
	s_mov_b32 exec_hi, -1                                      // 00000000CA2C: BEFF00C1
	v_add_u32_e32 v6, s70, v6                                  // 00000000CA30: 680C0C46
	s_mul_i32 s60, 12, s70                                     // 00000000CA34: 923C468C
	v_add_u32_e32 v6, s60, v6                                  // 00000000CA38: 680C0C3C
	s_cmp_ge_i32 2, s72                                        // 00000000CA3C: BF034882
	s_cbranch_scc1 label_24B5                                  // 00000000CA40: BF850190
	v_mov_b32_e32 v30, v216                                    // 00000000CA44: 7E3C03D8
	v_mov_b32_e32 v31, v217                                    // 00000000CA48: 7E3E03D9
	v_cmp_u_f32_e64 s[78:79], v30, v30                         // 00000000CA4C: D048004E 00023D1E
	v_bfe_u32 v248, v30, 16, 1                                 // 00000000CA54: D1C800F8 0205211E
	v_add3_u32 v248, v30, v248, v251                           // 00000000CA5C: D1FF00F8 07EFF11E
	v_cndmask_b32_e64 v28, v248, v250, s[78:79]                // 00000000CA64: D100001C 013BF5F8
	v_lshrrev_b32_e32 v28, 16, v28                             // 00000000CA6C: 20383890
	v_cmp_u_f32_e64 s[78:79], v31, v31                         // 00000000CA70: D048004E 00023F1F
	v_bfe_u32 v248, v31, 16, 1                                 // 00000000CA78: D1C800F8 0205211F
	v_add3_u32 v248, v31, v248, v251                           // 00000000CA80: D1FF00F8 07EFF11F
	v_cndmask_b32_e64 v29, v248, v250, s[78:79]                // 00000000CA88: D100001D 013BF5F8
	v_and_or_b32 v184, v29, v249, v28                          // 00000000CA90: D20100B8 0473F31D
	v_mov_b32_e32 v30, v218                                    // 00000000CA98: 7E3C03DA
	v_mov_b32_e32 v31, v219                                    // 00000000CA9C: 7E3E03DB
	v_cmp_u_f32_e64 s[78:79], v30, v30                         // 00000000CAA0: D048004E 00023D1E
	v_bfe_u32 v248, v30, 16, 1                                 // 00000000CAA8: D1C800F8 0205211E
	v_add3_u32 v248, v30, v248, v251                           // 00000000CAB0: D1FF00F8 07EFF11E
	v_cndmask_b32_e64 v28, v248, v250, s[78:79]                // 00000000CAB8: D100001C 013BF5F8
	v_lshrrev_b32_e32 v28, 16, v28                             // 00000000CAC0: 20383890
	v_cmp_u_f32_e64 s[78:79], v31, v31                         // 00000000CAC4: D048004E 00023F1F
	v_bfe_u32 v248, v31, 16, 1                                 // 00000000CACC: D1C800F8 0205211F
	v_add3_u32 v248, v31, v248, v251                           // 00000000CAD4: D1FF00F8 07EFF11F
	v_cndmask_b32_e64 v29, v248, v250, s[78:79]                // 00000000CADC: D100001D 013BF5F8
	v_and_or_b32 v185, v29, v249, v28                          // 00000000CAE4: D20100B9 0473F31D
	v_mov_b32_e32 v30, v220                                    // 00000000CAEC: 7E3C03DC
	v_mov_b32_e32 v31, v221                                    // 00000000CAF0: 7E3E03DD
	v_cmp_u_f32_e64 s[78:79], v30, v30                         // 00000000CAF4: D048004E 00023D1E
	v_bfe_u32 v248, v30, 16, 1                                 // 00000000CAFC: D1C800F8 0205211E
	v_add3_u32 v248, v30, v248, v251                           // 00000000CB04: D1FF00F8 07EFF11E
	v_cndmask_b32_e64 v28, v248, v250, s[78:79]                // 00000000CB0C: D100001C 013BF5F8
	v_lshrrev_b32_e32 v28, 16, v28                             // 00000000CB14: 20383890
	v_cmp_u_f32_e64 s[78:79], v31, v31                         // 00000000CB18: D048004E 00023F1F
	v_bfe_u32 v248, v31, 16, 1                                 // 00000000CB20: D1C800F8 0205211F
	v_add3_u32 v248, v31, v248, v251                           // 00000000CB28: D1FF00F8 07EFF11F
	v_cndmask_b32_e64 v29, v248, v250, s[78:79]                // 00000000CB30: D100001D 013BF5F8
	v_and_or_b32 v186, v29, v249, v28                          // 00000000CB38: D20100BA 0473F31D
	v_mov_b32_e32 v30, v222                                    // 00000000CB40: 7E3C03DE
	v_mov_b32_e32 v31, v223                                    // 00000000CB44: 7E3E03DF
	v_cmp_u_f32_e64 s[78:79], v30, v30                         // 00000000CB48: D048004E 00023D1E
	v_bfe_u32 v248, v30, 16, 1                                 // 00000000CB50: D1C800F8 0205211E
	v_add3_u32 v248, v30, v248, v251                           // 00000000CB58: D1FF00F8 07EFF11E
	v_cndmask_b32_e64 v28, v248, v250, s[78:79]                // 00000000CB60: D100001C 013BF5F8
	v_lshrrev_b32_e32 v28, 16, v28                             // 00000000CB68: 20383890
	v_cmp_u_f32_e64 s[78:79], v31, v31                         // 00000000CB6C: D048004E 00023F1F
	v_bfe_u32 v248, v31, 16, 1                                 // 00000000CB74: D1C800F8 0205211F
	v_add3_u32 v248, v31, v248, v251                           // 00000000CB7C: D1FF00F8 07EFF11F
	v_cndmask_b32_e64 v29, v248, v250, s[78:79]                // 00000000CB84: D100001D 013BF5F8
	v_and_or_b32 v187, v29, v249, v28                          // 00000000CB8C: D20100BB 0473F31D
	v_mov_b32_e32 v30, v224                                    // 00000000CB94: 7E3C03E0
	v_mov_b32_e32 v31, v225                                    // 00000000CB98: 7E3E03E1
	v_cmp_u_f32_e64 s[78:79], v30, v30                         // 00000000CB9C: D048004E 00023D1E
	v_bfe_u32 v248, v30, 16, 1                                 // 00000000CBA4: D1C800F8 0205211E
	v_add3_u32 v248, v30, v248, v251                           // 00000000CBAC: D1FF00F8 07EFF11E
	v_cndmask_b32_e64 v28, v248, v250, s[78:79]                // 00000000CBB4: D100001C 013BF5F8
	v_lshrrev_b32_e32 v28, 16, v28                             // 00000000CBBC: 20383890
	v_cmp_u_f32_e64 s[78:79], v31, v31                         // 00000000CBC0: D048004E 00023F1F
	v_bfe_u32 v248, v31, 16, 1                                 // 00000000CBC8: D1C800F8 0205211F
	v_add3_u32 v248, v31, v248, v251                           // 00000000CBD0: D1FF00F8 07EFF11F
	v_cndmask_b32_e64 v29, v248, v250, s[78:79]                // 00000000CBD8: D100001D 013BF5F8
	v_and_or_b32 v188, v29, v249, v28                          // 00000000CBE0: D20100BC 0473F31D
	v_mov_b32_e32 v30, v226                                    // 00000000CBE8: 7E3C03E2
	v_mov_b32_e32 v31, v227                                    // 00000000CBEC: 7E3E03E3
	v_cmp_u_f32_e64 s[78:79], v30, v30                         // 00000000CBF0: D048004E 00023D1E
	v_bfe_u32 v248, v30, 16, 1                                 // 00000000CBF8: D1C800F8 0205211E
	v_add3_u32 v248, v30, v248, v251                           // 00000000CC00: D1FF00F8 07EFF11E
	v_cndmask_b32_e64 v28, v248, v250, s[78:79]                // 00000000CC08: D100001C 013BF5F8
	v_lshrrev_b32_e32 v28, 16, v28                             // 00000000CC10: 20383890
	v_cmp_u_f32_e64 s[78:79], v31, v31                         // 00000000CC14: D048004E 00023F1F
	v_bfe_u32 v248, v31, 16, 1                                 // 00000000CC1C: D1C800F8 0205211F
	v_add3_u32 v248, v31, v248, v251                           // 00000000CC24: D1FF00F8 07EFF11F
	v_cndmask_b32_e64 v29, v248, v250, s[78:79]                // 00000000CC2C: D100001D 013BF5F8
	v_and_or_b32 v189, v29, v249, v28                          // 00000000CC34: D20100BD 0473F31D
	v_mov_b32_e32 v30, v228                                    // 00000000CC3C: 7E3C03E4
	v_mov_b32_e32 v31, v229                                    // 00000000CC40: 7E3E03E5
	v_cmp_u_f32_e64 s[78:79], v30, v30                         // 00000000CC44: D048004E 00023D1E
	v_bfe_u32 v248, v30, 16, 1                                 // 00000000CC4C: D1C800F8 0205211E
	v_add3_u32 v248, v30, v248, v251                           // 00000000CC54: D1FF00F8 07EFF11E
	v_cndmask_b32_e64 v28, v248, v250, s[78:79]                // 00000000CC5C: D100001C 013BF5F8
	v_lshrrev_b32_e32 v28, 16, v28                             // 00000000CC64: 20383890
	v_cmp_u_f32_e64 s[78:79], v31, v31                         // 00000000CC68: D048004E 00023F1F
	v_bfe_u32 v248, v31, 16, 1                                 // 00000000CC70: D1C800F8 0205211F
	v_add3_u32 v248, v31, v248, v251                           // 00000000CC78: D1FF00F8 07EFF11F
	v_cndmask_b32_e64 v29, v248, v250, s[78:79]                // 00000000CC80: D100001D 013BF5F8
	v_and_or_b32 v190, v29, v249, v28                          // 00000000CC88: D20100BE 0473F31D
	v_mov_b32_e32 v30, v230                                    // 00000000CC90: 7E3C03E6
	v_mov_b32_e32 v31, v231                                    // 00000000CC94: 7E3E03E7
	v_cmp_u_f32_e64 s[78:79], v30, v30                         // 00000000CC98: D048004E 00023D1E
	v_bfe_u32 v248, v30, 16, 1                                 // 00000000CCA0: D1C800F8 0205211E
	v_add3_u32 v248, v30, v248, v251                           // 00000000CCA8: D1FF00F8 07EFF11E
	v_cndmask_b32_e64 v28, v248, v250, s[78:79]                // 00000000CCB0: D100001C 013BF5F8
	v_lshrrev_b32_e32 v28, 16, v28                             // 00000000CCB8: 20383890
	v_cmp_u_f32_e64 s[78:79], v31, v31                         // 00000000CCBC: D048004E 00023F1F
	v_bfe_u32 v248, v31, 16, 1                                 // 00000000CCC4: D1C800F8 0205211F
	v_add3_u32 v248, v31, v248, v251                           // 00000000CCCC: D1FF00F8 07EFF11F
	v_cndmask_b32_e64 v29, v248, v250, s[78:79]                // 00000000CCD4: D100001D 013BF5F8
	v_and_or_b32 v191, v29, v249, v28                          // 00000000CCDC: D20100BF 0473F31D
	v_mov_b32_e32 v30, v232                                    // 00000000CCE4: 7E3C03E8
	v_mov_b32_e32 v31, v233                                    // 00000000CCE8: 7E3E03E9
	v_cmp_u_f32_e64 s[78:79], v30, v30                         // 00000000CCEC: D048004E 00023D1E
	v_bfe_u32 v248, v30, 16, 1                                 // 00000000CCF4: D1C800F8 0205211E
	v_add3_u32 v248, v30, v248, v251                           // 00000000CCFC: D1FF00F8 07EFF11E
	v_cndmask_b32_e64 v28, v248, v250, s[78:79]                // 00000000CD04: D100001C 013BF5F8
	v_lshrrev_b32_e32 v28, 16, v28                             // 00000000CD0C: 20383890
	v_cmp_u_f32_e64 s[78:79], v31, v31                         // 00000000CD10: D048004E 00023F1F
	v_bfe_u32 v248, v31, 16, 1                                 // 00000000CD18: D1C800F8 0205211F
	v_add3_u32 v248, v31, v248, v251                           // 00000000CD20: D1FF00F8 07EFF11F
	v_cndmask_b32_e64 v29, v248, v250, s[78:79]                // 00000000CD28: D100001D 013BF5F8
	v_and_or_b32 v192, v29, v249, v28                          // 00000000CD30: D20100C0 0473F31D
	v_mov_b32_e32 v30, v234                                    // 00000000CD38: 7E3C03EA
	v_mov_b32_e32 v31, v235                                    // 00000000CD3C: 7E3E03EB
	v_cmp_u_f32_e64 s[78:79], v30, v30                         // 00000000CD40: D048004E 00023D1E
	v_bfe_u32 v248, v30, 16, 1                                 // 00000000CD48: D1C800F8 0205211E
	v_add3_u32 v248, v30, v248, v251                           // 00000000CD50: D1FF00F8 07EFF11E
	v_cndmask_b32_e64 v28, v248, v250, s[78:79]                // 00000000CD58: D100001C 013BF5F8
	v_lshrrev_b32_e32 v28, 16, v28                             // 00000000CD60: 20383890
	v_cmp_u_f32_e64 s[78:79], v31, v31                         // 00000000CD64: D048004E 00023F1F
	v_bfe_u32 v248, v31, 16, 1                                 // 00000000CD6C: D1C800F8 0205211F
	v_add3_u32 v248, v31, v248, v251                           // 00000000CD74: D1FF00F8 07EFF11F
	v_cndmask_b32_e64 v29, v248, v250, s[78:79]                // 00000000CD7C: D100001D 013BF5F8
	v_and_or_b32 v193, v29, v249, v28                          // 00000000CD84: D20100C1 0473F31D
	v_mov_b32_e32 v30, v236                                    // 00000000CD8C: 7E3C03EC
	v_mov_b32_e32 v31, v237                                    // 00000000CD90: 7E3E03ED
	v_cmp_u_f32_e64 s[78:79], v30, v30                         // 00000000CD94: D048004E 00023D1E
	v_bfe_u32 v248, v30, 16, 1                                 // 00000000CD9C: D1C800F8 0205211E
	v_add3_u32 v248, v30, v248, v251                           // 00000000CDA4: D1FF00F8 07EFF11E
	v_cndmask_b32_e64 v28, v248, v250, s[78:79]                // 00000000CDAC: D100001C 013BF5F8
	v_lshrrev_b32_e32 v28, 16, v28                             // 00000000CDB4: 20383890
	v_cmp_u_f32_e64 s[78:79], v31, v31                         // 00000000CDB8: D048004E 00023F1F
	v_bfe_u32 v248, v31, 16, 1                                 // 00000000CDC0: D1C800F8 0205211F
	v_add3_u32 v248, v31, v248, v251                           // 00000000CDC8: D1FF00F8 07EFF11F
	v_cndmask_b32_e64 v29, v248, v250, s[78:79]                // 00000000CDD0: D100001D 013BF5F8
	v_and_or_b32 v194, v29, v249, v28                          // 00000000CDD8: D20100C2 0473F31D
	v_mov_b32_e32 v30, v238                                    // 00000000CDE0: 7E3C03EE
	v_mov_b32_e32 v31, v239                                    // 00000000CDE4: 7E3E03EF
	v_cmp_u_f32_e64 s[78:79], v30, v30                         // 00000000CDE8: D048004E 00023D1E
	v_bfe_u32 v248, v30, 16, 1                                 // 00000000CDF0: D1C800F8 0205211E
	v_add3_u32 v248, v30, v248, v251                           // 00000000CDF8: D1FF00F8 07EFF11E
	v_cndmask_b32_e64 v28, v248, v250, s[78:79]                // 00000000CE00: D100001C 013BF5F8
	v_lshrrev_b32_e32 v28, 16, v28                             // 00000000CE08: 20383890
	v_cmp_u_f32_e64 s[78:79], v31, v31                         // 00000000CE0C: D048004E 00023F1F
	v_bfe_u32 v248, v31, 16, 1                                 // 00000000CE14: D1C800F8 0205211F
	v_add3_u32 v248, v31, v248, v251                           // 00000000CE1C: D1FF00F8 07EFF11F
	v_cndmask_b32_e64 v29, v248, v250, s[78:79]                // 00000000CE24: D100001D 013BF5F8
	v_and_or_b32 v195, v29, v249, v28                          // 00000000CE2C: D20100C3 0473F31D
	v_mov_b32_e32 v30, v240                                    // 00000000CE34: 7E3C03F0
	v_mov_b32_e32 v31, v241                                    // 00000000CE38: 7E3E03F1
	v_cmp_u_f32_e64 s[78:79], v30, v30                         // 00000000CE3C: D048004E 00023D1E
	v_bfe_u32 v248, v30, 16, 1                                 // 00000000CE44: D1C800F8 0205211E
	v_add3_u32 v248, v30, v248, v251                           // 00000000CE4C: D1FF00F8 07EFF11E
	v_cndmask_b32_e64 v28, v248, v250, s[78:79]                // 00000000CE54: D100001C 013BF5F8
	v_lshrrev_b32_e32 v28, 16, v28                             // 00000000CE5C: 20383890
	v_cmp_u_f32_e64 s[78:79], v31, v31                         // 00000000CE60: D048004E 00023F1F
	v_bfe_u32 v248, v31, 16, 1                                 // 00000000CE68: D1C800F8 0205211F
	v_add3_u32 v248, v31, v248, v251                           // 00000000CE70: D1FF00F8 07EFF11F
	v_cndmask_b32_e64 v29, v248, v250, s[78:79]                // 00000000CE78: D100001D 013BF5F8
	v_and_or_b32 v196, v29, v249, v28                          // 00000000CE80: D20100C4 0473F31D
	v_mov_b32_e32 v30, v242                                    // 00000000CE88: 7E3C03F2
	v_mov_b32_e32 v31, v243                                    // 00000000CE8C: 7E3E03F3
	v_cmp_u_f32_e64 s[78:79], v30, v30                         // 00000000CE90: D048004E 00023D1E
	v_bfe_u32 v248, v30, 16, 1                                 // 00000000CE98: D1C800F8 0205211E
	v_add3_u32 v248, v30, v248, v251                           // 00000000CEA0: D1FF00F8 07EFF11E
	v_cndmask_b32_e64 v28, v248, v250, s[78:79]                // 00000000CEA8: D100001C 013BF5F8
	v_lshrrev_b32_e32 v28, 16, v28                             // 00000000CEB0: 20383890
	v_cmp_u_f32_e64 s[78:79], v31, v31                         // 00000000CEB4: D048004E 00023F1F
	v_bfe_u32 v248, v31, 16, 1                                 // 00000000CEBC: D1C800F8 0205211F
	v_add3_u32 v248, v31, v248, v251                           // 00000000CEC4: D1FF00F8 07EFF11F
	v_cndmask_b32_e64 v29, v248, v250, s[78:79]                // 00000000CECC: D100001D 013BF5F8
	v_and_or_b32 v197, v29, v249, v28                          // 00000000CED4: D20100C5 0473F31D
	v_mov_b32_e32 v30, v244                                    // 00000000CEDC: 7E3C03F4
	v_mov_b32_e32 v31, v245                                    // 00000000CEE0: 7E3E03F5
	v_cmp_u_f32_e64 s[78:79], v30, v30                         // 00000000CEE4: D048004E 00023D1E
	v_bfe_u32 v248, v30, 16, 1                                 // 00000000CEEC: D1C800F8 0205211E
	v_add3_u32 v248, v30, v248, v251                           // 00000000CEF4: D1FF00F8 07EFF11E
	v_cndmask_b32_e64 v28, v248, v250, s[78:79]                // 00000000CEFC: D100001C 013BF5F8
	v_lshrrev_b32_e32 v28, 16, v28                             // 00000000CF04: 20383890
	v_cmp_u_f32_e64 s[78:79], v31, v31                         // 00000000CF08: D048004E 00023F1F
	v_bfe_u32 v248, v31, 16, 1                                 // 00000000CF10: D1C800F8 0205211F
	v_add3_u32 v248, v31, v248, v251                           // 00000000CF18: D1FF00F8 07EFF11F
	v_cndmask_b32_e64 v29, v248, v250, s[78:79]                // 00000000CF20: D100001D 013BF5F8
	v_and_or_b32 v198, v29, v249, v28                          // 00000000CF28: D20100C6 0473F31D
	v_mov_b32_e32 v30, v246                                    // 00000000CF30: 7E3C03F6
	v_mov_b32_e32 v31, v247                                    // 00000000CF34: 7E3E03F7
	v_cmp_u_f32_e64 s[78:79], v30, v30                         // 00000000CF38: D048004E 00023D1E
	v_bfe_u32 v248, v30, 16, 1                                 // 00000000CF40: D1C800F8 0205211E
	v_add3_u32 v248, v30, v248, v251                           // 00000000CF48: D1FF00F8 07EFF11E
	v_cndmask_b32_e64 v28, v248, v250, s[78:79]                // 00000000CF50: D100001C 013BF5F8
	v_lshrrev_b32_e32 v28, 16, v28                             // 00000000CF58: 20383890
	v_cmp_u_f32_e64 s[78:79], v31, v31                         // 00000000CF5C: D048004E 00023F1F
	v_bfe_u32 v248, v31, 16, 1                                 // 00000000CF64: D1C800F8 0205211F
	v_add3_u32 v248, v31, v248, v251                           // 00000000CF6C: D1FF00F8 07EFF11F
	v_cndmask_b32_e64 v29, v248, v250, s[78:79]                // 00000000CF74: D100001D 013BF5F8
	v_and_or_b32 v199, v29, v249, v28                          // 00000000CF7C: D20100C7 0473F31D
	ds_write_b64 v25, v[184:185] offset:33792                  // 00000000CF84: D89A8400 0000B819
	ds_write_b64 v25, v[186:187] offset:34320                  // 00000000CF8C: D89A8610 0000BA19
	ds_write_b64 v25, v[188:189] offset:34848                  // 00000000CF94: D89A8820 0000BC19
	ds_write_b64 v25, v[190:191] offset:35376                  // 00000000CF9C: D89A8A30 0000BE19
	ds_write_b64 v25, v[192:193] offset:35904                  // 00000000CFA4: D89A8C40 0000C019
	ds_write_b64 v25, v[194:195] offset:36432                  // 00000000CFAC: D89A8E50 0000C219
	ds_write_b64 v25, v[196:197] offset:36960                  // 00000000CFB4: D89A9060 0000C419
	ds_write_b64 v25, v[198:199] offset:37488                  // 00000000CFBC: D89A9270 0000C619
	s_waitcnt lgkmcnt(0)                                       // 00000000CFC4: BF8CC07F
	s_barrier                                                  // 00000000CFC8: BF8A0000
	ds_read_b64 v[184:185], v24 offset:33792                   // 00000000CFCC: D8EC8400 B8000018
	ds_read_b64 v[186:187], v24 offset:33920                   // 00000000CFD4: D8EC8480 BA000018
	ds_read_b64 v[188:189], v24 offset:33824                   // 00000000CFDC: D8EC8420 BC000018
	ds_read_b64 v[190:191], v24 offset:33952                   // 00000000CFE4: D8EC84A0 BE000018
	ds_read_b64 v[192:193], v24 offset:33856                   // 00000000CFEC: D8EC8440 C0000018
	ds_read_b64 v[194:195], v24 offset:33984                   // 00000000CFF4: D8EC84C0 C2000018
	ds_read_b64 v[196:197], v24 offset:33888                   // 00000000CFFC: D8EC8460 C4000018
	ds_read_b64 v[198:199], v24 offset:34016                   // 00000000D004: D8EC84E0 C6000018
	s_waitcnt lgkmcnt(0)                                       // 00000000D00C: BF8CC07F
	s_mov_b32 s70, s53                                         // 00000000D010: BEC60035
	s_mov_b64 exec, s[92:93]                                   // 00000000D014: BEFE015C
	buffer_store_dwordx4 v[184:187], v6, s[40:43], 0 idxen     // 00000000D018: E07C2000 800AB806
	s_mov_b32 exec_lo, -1                                      // 00000000D020: BEFE00C1
	s_mov_b32 exec_hi, -1                                      // 00000000D024: BEFF00C1
	v_add_u32_e32 v6, s70, v6                                  // 00000000D028: 680C0C46
	s_mov_b64 exec, s[92:93]                                   // 00000000D02C: BEFE015C
	buffer_store_dwordx4 v[188:191], v6, s[40:43], 0 idxen     // 00000000D030: E07C2000 800ABC06
	s_mov_b32 exec_lo, -1                                      // 00000000D038: BEFE00C1
	s_mov_b32 exec_hi, -1                                      // 00000000D03C: BEFF00C1
	v_add_u32_e32 v6, s70, v6                                  // 00000000D040: 680C0C46
	s_mov_b64 exec, s[92:93]                                   // 00000000D044: BEFE015C
	buffer_store_dwordx4 v[192:195], v6, s[40:43], 0 idxen     // 00000000D048: E07C2000 800AC006
	s_mov_b32 exec_lo, -1                                      // 00000000D050: BEFE00C1
	s_mov_b32 exec_hi, -1                                      // 00000000D054: BEFF00C1
	v_add_u32_e32 v6, s70, v6                                  // 00000000D058: 680C0C46
	s_mov_b64 exec, s[92:93]                                   // 00000000D05C: BEFE015C
	buffer_store_dwordx4 v[196:199], v6, s[40:43], 0 idxen     // 00000000D060: E07C2000 800AC406
	s_mov_b32 exec_lo, -1                                      // 00000000D068: BEFE00C1
	s_mov_b32 exec_hi, -1                                      // 00000000D06C: BEFF00C1
	v_add_u32_e32 v6, s70, v6                                  // 00000000D070: 680C0C46
	s_mul_i32 s60, 12, s70                                     // 00000000D074: 923C468C
	v_add_u32_e32 v6, s60, v6                                  // 00000000D078: 680C0C3C
	s_cmp_ge_i32 3, s72                                        // 00000000D07C: BF034883
	s_cbranch_scc1 label_24B5                                  // 00000000D080: BF850000

000000000000d084 <label_24B5>:
	s_waitcnt vmcnt(0) expcnt(0) lgkmcnt(0)                    // 00000000D084: BF8C0000
	s_sub_i32 s60, s77, 1                                      // 00000000D088: 81BC814D
	s_sub_i32 s2, s60, s2                                      // 00000000D08C: 8182023C
	s_addk_i32 s75, 0x1                                        // 00000000D090: B74B0001
	s_cmp_lt_i32 s75, s76                                      // 00000000D094: BF044C4B
	s_cbranch_scc1 label_0162                                  // 00000000D098: BF85DCBB
	s_endpgm                                                   // 00000000D09C: BF810000
